;; amdgpu-corpus repo=ROCm/rccl kind=compiled arch=gfx1100 opt=O3
	.text
	.amdgcn_target "amdgcn-amd-amdhsa--gfx1100"
	.amdhsa_code_object_version 6
	.p2align	2                               ; -- Begin function __ockl_fprintf_append_string_n
	.type	__ockl_fprintf_append_string_n,@function
__ockl_fprintf_append_string_n:         ; @__ockl_fprintf_append_string_n
; %bb.0:
	s_waitcnt vmcnt(0) expcnt(0) lgkmcnt(0)
	v_dual_mov_b32 v8, v3 :: v_dual_mov_b32 v7, v2
	v_or_b32_e32 v2, 2, v0
	v_cmp_eq_u32_e32 vcc_lo, 0, v6
	v_mbcnt_lo_u32_b32 v33, -1, 0
	s_mov_b32 s11, 0
	s_mov_b32 s0, exec_lo
	v_cndmask_b32_e32 v0, v2, v0, vcc_lo
	v_cmpx_ne_u64_e32 0, v[7:8]
	s_xor_b32 s10, exec_lo, s0
	s_cbranch_execz .LBB0_86
; %bb.1:
	s_load_b64 s[2:3], s[8:9], 0x50
	v_dual_mov_b32 v11, 2 :: v_dual_and_b32 v6, 2, v0
	v_mov_b32_e32 v10, 0
	v_and_b32_e32 v0, -3, v0
	v_mov_b32_e32 v12, 1
	s_mov_b32 s12, 0
	s_branch .LBB0_3
.LBB0_2:                                ;   in Loop: Header=BB0_3 Depth=1
	s_or_b32 exec_lo, exec_lo, s1
	v_sub_co_u32 v4, vcc_lo, v4, v29
	v_sub_co_ci_u32_e32 v5, vcc_lo, v5, v30, vcc_lo
	v_add_co_u32 v7, s0, v7, v29
	s_delay_alu instid0(VALU_DEP_1) | instskip(NEXT) | instid1(VALU_DEP_3)
	v_add_co_ci_u32_e64 v8, s0, v8, v30, s0
	v_cmp_eq_u64_e32 vcc_lo, 0, v[4:5]
	s_or_b32 s12, vcc_lo, s12
	s_delay_alu instid0(SALU_CYCLE_1)
	s_and_not1_b32 exec_lo, exec_lo, s12
	s_cbranch_execz .LBB0_85
.LBB0_3:                                ; =>This Loop Header: Depth=1
                                        ;     Child Loop BB0_6 Depth 2
                                        ;     Child Loop BB0_14 Depth 2
	;; [unrolled: 1-line block ×11, first 2 shown]
	v_cmp_gt_u64_e32 vcc_lo, 56, v[4:5]
	s_mov_b32 s1, exec_lo
                                        ; implicit-def: $vgpr2_vgpr3
                                        ; implicit-def: $sgpr4
	v_dual_cndmask_b32 v30, 0, v5 :: v_dual_cndmask_b32 v29, 56, v4
	v_cmpx_gt_u64_e32 8, v[4:5]
	s_xor_b32 s1, exec_lo, s1
	s_cbranch_execz .LBB0_9
; %bb.4:                                ;   in Loop: Header=BB0_3 Depth=1
	s_waitcnt vmcnt(0)
	v_mov_b32_e32 v2, 0
	v_mov_b32_e32 v3, 0
	s_mov_b64 s[4:5], 0
	s_mov_b32 s6, exec_lo
	v_cmpx_ne_u64_e32 0, v[4:5]
	s_cbranch_execz .LBB0_8
; %bb.5:                                ;   in Loop: Header=BB0_3 Depth=1
	v_lshlrev_b64 v[13:14], 3, v[29:30]
	v_dual_mov_b32 v2, 0 :: v_dual_mov_b32 v15, v8
	v_dual_mov_b32 v3, 0 :: v_dual_mov_b32 v14, v7
	s_mov_b32 s7, 0
	.p2align	6
.LBB0_6:                                ;   Parent Loop BB0_3 Depth=1
                                        ; =>  This Inner Loop Header: Depth=2
	flat_load_u8 v9, v[14:15]
	v_mov_b32_e32 v17, s11
	v_add_co_u32 v14, vcc_lo, v14, 1
	v_add_co_ci_u32_e32 v15, vcc_lo, 0, v15, vcc_lo
	s_waitcnt vmcnt(0) lgkmcnt(0)
	v_and_b32_e32 v16, 0xffff, v9
	s_delay_alu instid0(VALU_DEP_1) | instskip(SKIP_3) | instid1(VALU_DEP_2)
	v_lshlrev_b64 v[16:17], s4, v[16:17]
	s_add_u32 s4, s4, 8
	s_addc_u32 s5, s5, 0
	v_cmp_eq_u32_e64 s0, s4, v13
	v_or_b32_e32 v3, v17, v3
	s_delay_alu instid0(VALU_DEP_3) | instskip(NEXT) | instid1(VALU_DEP_3)
	v_or_b32_e32 v2, v16, v2
	s_or_b32 s7, s0, s7
	s_delay_alu instid0(SALU_CYCLE_1)
	s_and_not1_b32 exec_lo, exec_lo, s7
	s_cbranch_execnz .LBB0_6
; %bb.7:                                ;   in Loop: Header=BB0_3 Depth=1
	s_or_b32 exec_lo, exec_lo, s7
.LBB0_8:                                ;   in Loop: Header=BB0_3 Depth=1
	s_delay_alu instid0(SALU_CYCLE_1)
	s_or_b32 exec_lo, exec_lo, s6
	s_mov_b32 s4, 0
.LBB0_9:                                ;   in Loop: Header=BB0_3 Depth=1
	s_or_saveexec_b32 s0, s1
	v_dual_mov_b32 v9, s4 :: v_dual_mov_b32 v26, v8
	v_mov_b32_e32 v25, v7
	s_xor_b32 exec_lo, exec_lo, s0
	s_cbranch_execz .LBB0_11
; %bb.10:                               ;   in Loop: Header=BB0_3 Depth=1
	s_waitcnt vmcnt(0)
	flat_load_b64 v[2:3], v[7:8]
	v_add_co_u32 v25, vcc_lo, v7, 8
	v_add_co_ci_u32_e32 v26, vcc_lo, 0, v8, vcc_lo
	s_waitcnt vmcnt(0) lgkmcnt(0)
	v_and_b32_e32 v9, 0xff, v3
	v_and_b32_e32 v13, 0xff00, v3
	;; [unrolled: 1-line block ×4, first 2 shown]
	v_or3_b32 v2, v2, 0, 0
	s_delay_alu instid0(VALU_DEP_4) | instskip(SKIP_1) | instid1(VALU_DEP_2)
	v_or_b32_e32 v13, v9, v13
	v_add_nc_u32_e32 v9, -8, v29
	v_or3_b32 v3, v13, v14, v3
.LBB0_11:                               ;   in Loop: Header=BB0_3 Depth=1
	s_or_b32 exec_lo, exec_lo, s0
                                        ; implicit-def: $vgpr13_vgpr14
                                        ; implicit-def: $sgpr1
	s_delay_alu instid0(SALU_CYCLE_1) | instskip(NEXT) | instid1(VALU_DEP_2)
	s_mov_b32 s0, exec_lo
	v_cmpx_gt_u32_e32 8, v9
	s_xor_b32 s6, exec_lo, s0
	s_cbranch_execz .LBB0_17
; %bb.12:                               ;   in Loop: Header=BB0_3 Depth=1
	v_mov_b32_e32 v13, 0
	v_mov_b32_e32 v14, 0
	s_mov_b32 s7, exec_lo
	v_cmpx_ne_u32_e32 0, v9
	s_cbranch_execz .LBB0_16
; %bb.13:                               ;   in Loop: Header=BB0_3 Depth=1
	v_mov_b32_e32 v13, 0
	v_mov_b32_e32 v14, 0
	s_mov_b64 s[0:1], 0
	s_mov_b32 s13, 0
	s_mov_b64 s[4:5], 0
	.p2align	6
.LBB0_14:                               ;   Parent Loop BB0_3 Depth=1
                                        ; =>  This Inner Loop Header: Depth=2
	s_delay_alu instid0(SALU_CYCLE_1)
	v_add_co_u32 v15, vcc_lo, v25, s4
	v_add_co_ci_u32_e32 v16, vcc_lo, s5, v26, vcc_lo
	s_add_u32 s4, s4, 1
	s_addc_u32 s5, s5, 0
	v_cmp_eq_u32_e32 vcc_lo, s4, v9
	flat_load_u8 v15, v[15:16]
	s_waitcnt vmcnt(0) lgkmcnt(0)
	v_dual_mov_b32 v16, s11 :: v_dual_and_b32 v15, 0xffff, v15
	s_delay_alu instid0(VALU_DEP_1) | instskip(SKIP_3) | instid1(VALU_DEP_1)
	v_lshlrev_b64 v[15:16], s0, v[15:16]
	s_add_u32 s0, s0, 8
	s_addc_u32 s1, s1, 0
	s_or_b32 s13, vcc_lo, s13
	v_or_b32_e32 v14, v16, v14
	s_delay_alu instid0(VALU_DEP_2)
	v_or_b32_e32 v13, v15, v13
	s_and_not1_b32 exec_lo, exec_lo, s13
	s_cbranch_execnz .LBB0_14
; %bb.15:                               ;   in Loop: Header=BB0_3 Depth=1
	s_or_b32 exec_lo, exec_lo, s13
.LBB0_16:                               ;   in Loop: Header=BB0_3 Depth=1
	s_delay_alu instid0(SALU_CYCLE_1)
	s_or_b32 exec_lo, exec_lo, s7
	s_mov_b32 s1, 0
                                        ; implicit-def: $vgpr9
.LBB0_17:                               ;   in Loop: Header=BB0_3 Depth=1
	s_or_saveexec_b32 s0, s6
	v_mov_b32_e32 v17, s1
	s_xor_b32 exec_lo, exec_lo, s0
	s_cbranch_execz .LBB0_19
; %bb.18:                               ;   in Loop: Header=BB0_3 Depth=1
	flat_load_b64 v[13:14], v[25:26]
	v_add_co_u32 v25, vcc_lo, v25, 8
	v_add_nc_u32_e32 v17, -8, v9
	v_add_co_ci_u32_e32 v26, vcc_lo, 0, v26, vcc_lo
	s_waitcnt vmcnt(0) lgkmcnt(0)
	v_and_b32_e32 v15, 0xff, v14
	v_and_b32_e32 v16, 0xff00, v14
	;; [unrolled: 1-line block ×4, first 2 shown]
	v_or3_b32 v13, v13, 0, 0
	s_delay_alu instid0(VALU_DEP_4) | instskip(NEXT) | instid1(VALU_DEP_1)
	v_or_b32_e32 v15, v15, v16
	v_or3_b32 v14, v15, v18, v14
.LBB0_19:                               ;   in Loop: Header=BB0_3 Depth=1
	s_or_b32 exec_lo, exec_lo, s0
                                        ; implicit-def: $sgpr1
	s_delay_alu instid0(SALU_CYCLE_1)
	s_mov_b32 s0, exec_lo
	v_cmpx_gt_u32_e32 8, v17
	s_xor_b32 s6, exec_lo, s0
	s_cbranch_execz .LBB0_25
; %bb.20:                               ;   in Loop: Header=BB0_3 Depth=1
	v_mov_b32_e32 v15, 0
	v_mov_b32_e32 v16, 0
	s_mov_b32 s7, exec_lo
	v_cmpx_ne_u32_e32 0, v17
	s_cbranch_execz .LBB0_24
; %bb.21:                               ;   in Loop: Header=BB0_3 Depth=1
	v_mov_b32_e32 v15, 0
	v_mov_b32_e32 v16, 0
	s_mov_b64 s[0:1], 0
	s_mov_b32 s13, 0
	s_mov_b64 s[4:5], 0
	.p2align	6
.LBB0_22:                               ;   Parent Loop BB0_3 Depth=1
                                        ; =>  This Inner Loop Header: Depth=2
	s_delay_alu instid0(SALU_CYCLE_1)
	v_add_co_u32 v18, vcc_lo, v25, s4
	v_add_co_ci_u32_e32 v19, vcc_lo, s5, v26, vcc_lo
	s_add_u32 s4, s4, 1
	s_addc_u32 s5, s5, 0
	v_cmp_eq_u32_e32 vcc_lo, s4, v17
	flat_load_u8 v9, v[18:19]
	s_waitcnt vmcnt(0) lgkmcnt(0)
	v_dual_mov_b32 v19, s11 :: v_dual_and_b32 v18, 0xffff, v9
	s_delay_alu instid0(VALU_DEP_1) | instskip(SKIP_3) | instid1(VALU_DEP_1)
	v_lshlrev_b64 v[18:19], s0, v[18:19]
	s_add_u32 s0, s0, 8
	s_addc_u32 s1, s1, 0
	s_or_b32 s13, vcc_lo, s13
	v_or_b32_e32 v16, v19, v16
	s_delay_alu instid0(VALU_DEP_2)
	v_or_b32_e32 v15, v18, v15
	s_and_not1_b32 exec_lo, exec_lo, s13
	s_cbranch_execnz .LBB0_22
; %bb.23:                               ;   in Loop: Header=BB0_3 Depth=1
	s_or_b32 exec_lo, exec_lo, s13
.LBB0_24:                               ;   in Loop: Header=BB0_3 Depth=1
	s_delay_alu instid0(SALU_CYCLE_1)
	s_or_b32 exec_lo, exec_lo, s7
	s_mov_b32 s1, 0
                                        ; implicit-def: $vgpr17
.LBB0_25:                               ;   in Loop: Header=BB0_3 Depth=1
	s_or_saveexec_b32 s0, s6
	v_mov_b32_e32 v9, s1
	s_xor_b32 exec_lo, exec_lo, s0
	s_cbranch_execz .LBB0_27
; %bb.26:                               ;   in Loop: Header=BB0_3 Depth=1
	flat_load_b64 v[15:16], v[25:26]
	v_add_co_u32 v25, vcc_lo, v25, 8
	v_add_co_ci_u32_e32 v26, vcc_lo, 0, v26, vcc_lo
	s_waitcnt vmcnt(0) lgkmcnt(0)
	v_and_b32_e32 v9, 0xff, v16
	v_and_b32_e32 v18, 0xff00, v16
	;; [unrolled: 1-line block ×4, first 2 shown]
	v_or3_b32 v15, v15, 0, 0
	s_delay_alu instid0(VALU_DEP_4) | instskip(SKIP_1) | instid1(VALU_DEP_2)
	v_or_b32_e32 v18, v9, v18
	v_add_nc_u32_e32 v9, -8, v17
	v_or3_b32 v16, v18, v19, v16
.LBB0_27:                               ;   in Loop: Header=BB0_3 Depth=1
	s_or_b32 exec_lo, exec_lo, s0
                                        ; implicit-def: $vgpr17_vgpr18
                                        ; implicit-def: $sgpr1
	s_delay_alu instid0(SALU_CYCLE_1) | instskip(NEXT) | instid1(VALU_DEP_1)
	s_mov_b32 s0, exec_lo
	v_cmpx_gt_u32_e32 8, v9
	s_xor_b32 s6, exec_lo, s0
	s_cbranch_execz .LBB0_33
; %bb.28:                               ;   in Loop: Header=BB0_3 Depth=1
	v_mov_b32_e32 v17, 0
	v_mov_b32_e32 v18, 0
	s_mov_b32 s7, exec_lo
	v_cmpx_ne_u32_e32 0, v9
	s_cbranch_execz .LBB0_32
; %bb.29:                               ;   in Loop: Header=BB0_3 Depth=1
	v_mov_b32_e32 v17, 0
	v_mov_b32_e32 v18, 0
	s_mov_b64 s[0:1], 0
	s_mov_b32 s13, 0
	s_mov_b64 s[4:5], 0
	.p2align	6
.LBB0_30:                               ;   Parent Loop BB0_3 Depth=1
                                        ; =>  This Inner Loop Header: Depth=2
	s_delay_alu instid0(SALU_CYCLE_1)
	v_add_co_u32 v19, vcc_lo, v25, s4
	v_add_co_ci_u32_e32 v20, vcc_lo, s5, v26, vcc_lo
	s_add_u32 s4, s4, 1
	s_addc_u32 s5, s5, 0
	v_cmp_eq_u32_e32 vcc_lo, s4, v9
	flat_load_u8 v19, v[19:20]
	s_waitcnt vmcnt(0) lgkmcnt(0)
	v_dual_mov_b32 v20, s11 :: v_dual_and_b32 v19, 0xffff, v19
	s_delay_alu instid0(VALU_DEP_1) | instskip(SKIP_3) | instid1(VALU_DEP_1)
	v_lshlrev_b64 v[19:20], s0, v[19:20]
	s_add_u32 s0, s0, 8
	s_addc_u32 s1, s1, 0
	s_or_b32 s13, vcc_lo, s13
	v_or_b32_e32 v18, v20, v18
	s_delay_alu instid0(VALU_DEP_2)
	v_or_b32_e32 v17, v19, v17
	s_and_not1_b32 exec_lo, exec_lo, s13
	s_cbranch_execnz .LBB0_30
; %bb.31:                               ;   in Loop: Header=BB0_3 Depth=1
	s_or_b32 exec_lo, exec_lo, s13
.LBB0_32:                               ;   in Loop: Header=BB0_3 Depth=1
	s_delay_alu instid0(SALU_CYCLE_1)
	s_or_b32 exec_lo, exec_lo, s7
	s_mov_b32 s1, 0
                                        ; implicit-def: $vgpr9
.LBB0_33:                               ;   in Loop: Header=BB0_3 Depth=1
	s_or_saveexec_b32 s0, s6
	v_mov_b32_e32 v21, s1
	s_xor_b32 exec_lo, exec_lo, s0
	s_cbranch_execz .LBB0_35
; %bb.34:                               ;   in Loop: Header=BB0_3 Depth=1
	flat_load_b64 v[17:18], v[25:26]
	v_add_co_u32 v25, vcc_lo, v25, 8
	v_add_nc_u32_e32 v21, -8, v9
	v_add_co_ci_u32_e32 v26, vcc_lo, 0, v26, vcc_lo
	s_waitcnt vmcnt(0) lgkmcnt(0)
	v_and_b32_e32 v19, 0xff, v18
	v_and_b32_e32 v20, 0xff00, v18
	;; [unrolled: 1-line block ×4, first 2 shown]
	v_or3_b32 v17, v17, 0, 0
	s_delay_alu instid0(VALU_DEP_4) | instskip(NEXT) | instid1(VALU_DEP_1)
	v_or_b32_e32 v19, v19, v20
	v_or3_b32 v18, v19, v22, v18
.LBB0_35:                               ;   in Loop: Header=BB0_3 Depth=1
	s_or_b32 exec_lo, exec_lo, s0
                                        ; implicit-def: $sgpr1
	s_delay_alu instid0(SALU_CYCLE_1)
	s_mov_b32 s0, exec_lo
	v_cmpx_gt_u32_e32 8, v21
	s_xor_b32 s6, exec_lo, s0
	s_cbranch_execz .LBB0_41
; %bb.36:                               ;   in Loop: Header=BB0_3 Depth=1
	v_mov_b32_e32 v19, 0
	v_mov_b32_e32 v20, 0
	s_mov_b32 s7, exec_lo
	v_cmpx_ne_u32_e32 0, v21
	s_cbranch_execz .LBB0_40
; %bb.37:                               ;   in Loop: Header=BB0_3 Depth=1
	v_mov_b32_e32 v19, 0
	v_mov_b32_e32 v20, 0
	s_mov_b64 s[0:1], 0
	s_mov_b32 s13, 0
	s_mov_b64 s[4:5], 0
	.p2align	6
.LBB0_38:                               ;   Parent Loop BB0_3 Depth=1
                                        ; =>  This Inner Loop Header: Depth=2
	s_delay_alu instid0(SALU_CYCLE_1)
	v_add_co_u32 v22, vcc_lo, v25, s4
	v_add_co_ci_u32_e32 v23, vcc_lo, s5, v26, vcc_lo
	s_add_u32 s4, s4, 1
	s_addc_u32 s5, s5, 0
	v_cmp_eq_u32_e32 vcc_lo, s4, v21
	flat_load_u8 v9, v[22:23]
	s_waitcnt vmcnt(0) lgkmcnt(0)
	v_dual_mov_b32 v23, s11 :: v_dual_and_b32 v22, 0xffff, v9
	s_delay_alu instid0(VALU_DEP_1) | instskip(SKIP_3) | instid1(VALU_DEP_1)
	v_lshlrev_b64 v[22:23], s0, v[22:23]
	s_add_u32 s0, s0, 8
	s_addc_u32 s1, s1, 0
	s_or_b32 s13, vcc_lo, s13
	v_or_b32_e32 v20, v23, v20
	s_delay_alu instid0(VALU_DEP_2)
	v_or_b32_e32 v19, v22, v19
	s_and_not1_b32 exec_lo, exec_lo, s13
	s_cbranch_execnz .LBB0_38
; %bb.39:                               ;   in Loop: Header=BB0_3 Depth=1
	s_or_b32 exec_lo, exec_lo, s13
.LBB0_40:                               ;   in Loop: Header=BB0_3 Depth=1
	s_delay_alu instid0(SALU_CYCLE_1)
	s_or_b32 exec_lo, exec_lo, s7
	s_mov_b32 s1, 0
                                        ; implicit-def: $vgpr21
.LBB0_41:                               ;   in Loop: Header=BB0_3 Depth=1
	s_or_saveexec_b32 s0, s6
	v_mov_b32_e32 v9, s1
	s_xor_b32 exec_lo, exec_lo, s0
	s_cbranch_execz .LBB0_43
; %bb.42:                               ;   in Loop: Header=BB0_3 Depth=1
	flat_load_b64 v[19:20], v[25:26]
	v_add_co_u32 v25, vcc_lo, v25, 8
	v_add_co_ci_u32_e32 v26, vcc_lo, 0, v26, vcc_lo
	s_waitcnt vmcnt(0) lgkmcnt(0)
	v_and_b32_e32 v9, 0xff, v20
	v_and_b32_e32 v22, 0xff00, v20
	;; [unrolled: 1-line block ×4, first 2 shown]
	v_or3_b32 v19, v19, 0, 0
	s_delay_alu instid0(VALU_DEP_4) | instskip(SKIP_1) | instid1(VALU_DEP_2)
	v_or_b32_e32 v22, v9, v22
	v_add_nc_u32_e32 v9, -8, v21
	v_or3_b32 v20, v22, v23, v20
.LBB0_43:                               ;   in Loop: Header=BB0_3 Depth=1
	s_or_b32 exec_lo, exec_lo, s0
                                        ; implicit-def: $vgpr21_vgpr22
                                        ; implicit-def: $sgpr1
	s_delay_alu instid0(SALU_CYCLE_1) | instskip(NEXT) | instid1(VALU_DEP_1)
	s_mov_b32 s0, exec_lo
	v_cmpx_gt_u32_e32 8, v9
	s_xor_b32 s6, exec_lo, s0
	s_cbranch_execz .LBB0_49
; %bb.44:                               ;   in Loop: Header=BB0_3 Depth=1
	v_mov_b32_e32 v21, 0
	v_mov_b32_e32 v22, 0
	s_mov_b32 s7, exec_lo
	v_cmpx_ne_u32_e32 0, v9
	s_cbranch_execz .LBB0_48
; %bb.45:                               ;   in Loop: Header=BB0_3 Depth=1
	v_mov_b32_e32 v21, 0
	v_mov_b32_e32 v22, 0
	s_mov_b64 s[0:1], 0
	s_mov_b32 s13, 0
	s_mov_b64 s[4:5], 0
	.p2align	6
.LBB0_46:                               ;   Parent Loop BB0_3 Depth=1
                                        ; =>  This Inner Loop Header: Depth=2
	s_delay_alu instid0(SALU_CYCLE_1)
	v_add_co_u32 v23, vcc_lo, v25, s4
	v_add_co_ci_u32_e32 v24, vcc_lo, s5, v26, vcc_lo
	s_add_u32 s4, s4, 1
	s_addc_u32 s5, s5, 0
	v_cmp_eq_u32_e32 vcc_lo, s4, v9
	flat_load_u8 v23, v[23:24]
	s_waitcnt vmcnt(0) lgkmcnt(0)
	v_dual_mov_b32 v24, s11 :: v_dual_and_b32 v23, 0xffff, v23
	s_delay_alu instid0(VALU_DEP_1) | instskip(SKIP_3) | instid1(VALU_DEP_1)
	v_lshlrev_b64 v[23:24], s0, v[23:24]
	s_add_u32 s0, s0, 8
	s_addc_u32 s1, s1, 0
	s_or_b32 s13, vcc_lo, s13
	v_or_b32_e32 v22, v24, v22
	s_delay_alu instid0(VALU_DEP_2)
	v_or_b32_e32 v21, v23, v21
	s_and_not1_b32 exec_lo, exec_lo, s13
	s_cbranch_execnz .LBB0_46
; %bb.47:                               ;   in Loop: Header=BB0_3 Depth=1
	s_or_b32 exec_lo, exec_lo, s13
.LBB0_48:                               ;   in Loop: Header=BB0_3 Depth=1
	s_delay_alu instid0(SALU_CYCLE_1)
	s_or_b32 exec_lo, exec_lo, s7
	s_mov_b32 s1, 0
                                        ; implicit-def: $vgpr9
.LBB0_49:                               ;   in Loop: Header=BB0_3 Depth=1
	s_or_saveexec_b32 s0, s6
	v_mov_b32_e32 v27, s1
	s_xor_b32 exec_lo, exec_lo, s0
	s_cbranch_execz .LBB0_51
; %bb.50:                               ;   in Loop: Header=BB0_3 Depth=1
	flat_load_b64 v[21:22], v[25:26]
	v_add_co_u32 v25, vcc_lo, v25, 8
	v_add_nc_u32_e32 v27, -8, v9
	v_add_co_ci_u32_e32 v26, vcc_lo, 0, v26, vcc_lo
	s_waitcnt vmcnt(0) lgkmcnt(0)
	v_and_b32_e32 v23, 0xff, v22
	v_and_b32_e32 v24, 0xff00, v22
	;; [unrolled: 1-line block ×4, first 2 shown]
	v_or3_b32 v21, v21, 0, 0
	s_delay_alu instid0(VALU_DEP_4) | instskip(NEXT) | instid1(VALU_DEP_1)
	v_or_b32_e32 v23, v23, v24
	v_or3_b32 v22, v23, v28, v22
.LBB0_51:                               ;   in Loop: Header=BB0_3 Depth=1
	s_or_b32 exec_lo, exec_lo, s0
	s_delay_alu instid0(SALU_CYCLE_1)
	s_mov_b32 s0, exec_lo
	v_cmpx_gt_u32_e32 8, v27
	s_xor_b32 s4, exec_lo, s0
	s_cbranch_execz .LBB0_57
; %bb.52:                               ;   in Loop: Header=BB0_3 Depth=1
	v_mov_b32_e32 v23, 0
	v_mov_b32_e32 v24, 0
	s_mov_b32 s5, exec_lo
	v_cmpx_ne_u32_e32 0, v27
	s_cbranch_execz .LBB0_56
; %bb.53:                               ;   in Loop: Header=BB0_3 Depth=1
	v_mov_b32_e32 v23, 0
	v_mov_b32_e32 v24, 0
	s_mov_b64 s[0:1], 0
	s_mov_b32 s6, 0
	.p2align	6
.LBB0_54:                               ;   Parent Loop BB0_3 Depth=1
                                        ; =>  This Inner Loop Header: Depth=2
	flat_load_u8 v9, v[25:26]
	v_dual_mov_b32 v32, s11 :: v_dual_add_nc_u32 v27, -1, v27
	v_add_co_u32 v25, vcc_lo, v25, 1
	v_add_co_ci_u32_e32 v26, vcc_lo, 0, v26, vcc_lo
	s_delay_alu instid0(VALU_DEP_3) | instskip(SKIP_2) | instid1(VALU_DEP_1)
	v_cmp_eq_u32_e32 vcc_lo, 0, v27
	s_waitcnt vmcnt(0) lgkmcnt(0)
	v_and_b32_e32 v31, 0xffff, v9
	v_lshlrev_b64 v[31:32], s0, v[31:32]
	s_add_u32 s0, s0, 8
	s_addc_u32 s1, s1, 0
	s_or_b32 s6, vcc_lo, s6
	s_delay_alu instid0(VALU_DEP_1) | instskip(NEXT) | instid1(VALU_DEP_2)
	v_or_b32_e32 v24, v32, v24
	v_or_b32_e32 v23, v31, v23
	s_and_not1_b32 exec_lo, exec_lo, s6
	s_cbranch_execnz .LBB0_54
; %bb.55:                               ;   in Loop: Header=BB0_3 Depth=1
	s_or_b32 exec_lo, exec_lo, s6
.LBB0_56:                               ;   in Loop: Header=BB0_3 Depth=1
	s_delay_alu instid0(SALU_CYCLE_1)
	s_or_b32 exec_lo, exec_lo, s5
                                        ; implicit-def: $vgpr25_vgpr26
.LBB0_57:                               ;   in Loop: Header=BB0_3 Depth=1
	s_and_not1_saveexec_b32 s0, s4
	s_cbranch_execz .LBB0_59
; %bb.58:                               ;   in Loop: Header=BB0_3 Depth=1
	flat_load_b64 v[23:24], v[25:26]
	s_waitcnt vmcnt(0) lgkmcnt(0)
	v_and_b32_e32 v9, 0xff, v24
	v_and_b32_e32 v25, 0xff00, v24
	;; [unrolled: 1-line block ×4, first 2 shown]
	v_or3_b32 v23, v23, 0, 0
	s_delay_alu instid0(VALU_DEP_4) | instskip(NEXT) | instid1(VALU_DEP_1)
	v_or_b32_e32 v9, v9, v25
	v_or3_b32 v24, v9, v26, v24
.LBB0_59:                               ;   in Loop: Header=BB0_3 Depth=1
	s_or_b32 exec_lo, exec_lo, s0
	v_readfirstlane_b32 s0, v33
	v_mov_b32_e32 v31, 0
	v_mov_b32_e32 v32, 0
	s_delay_alu instid0(VALU_DEP_3) | instskip(NEXT) | instid1(VALU_DEP_1)
	v_cmp_eq_u32_e64 s0, s0, v33
	s_and_saveexec_b32 s1, s0
	s_cbranch_execz .LBB0_65
; %bb.60:                               ;   in Loop: Header=BB0_3 Depth=1
	s_waitcnt lgkmcnt(0)
	global_load_b64 v[27:28], v10, s[2:3] offset:24 glc
	s_waitcnt vmcnt(0)
	buffer_gl1_inv
	buffer_gl0_inv
	s_clause 0x1
	global_load_b64 v[25:26], v10, s[2:3] offset:40
	global_load_b64 v[31:32], v10, s[2:3]
	s_mov_b32 s4, exec_lo
	s_waitcnt vmcnt(1)
	v_and_b32_e32 v9, v26, v28
	v_and_b32_e32 v25, v25, v27
	s_delay_alu instid0(VALU_DEP_2) | instskip(NEXT) | instid1(VALU_DEP_2)
	v_mul_lo_u32 v9, v9, 24
	v_mul_hi_u32 v26, v25, 24
	v_mul_lo_u32 v25, v25, 24
	s_delay_alu instid0(VALU_DEP_2) | instskip(SKIP_1) | instid1(VALU_DEP_2)
	v_add_nc_u32_e32 v9, v26, v9
	s_waitcnt vmcnt(0)
	v_add_co_u32 v25, vcc_lo, v31, v25
	s_delay_alu instid0(VALU_DEP_2)
	v_add_co_ci_u32_e32 v26, vcc_lo, v32, v9, vcc_lo
	global_load_b64 v[25:26], v[25:26], off glc
	s_waitcnt vmcnt(0)
	global_atomic_cmpswap_b64 v[31:32], v10, v[25:28], s[2:3] offset:24 glc
	s_waitcnt vmcnt(0)
	buffer_gl1_inv
	buffer_gl0_inv
	v_cmpx_ne_u64_e64 v[31:32], v[27:28]
	s_cbranch_execz .LBB0_64
; %bb.61:                               ;   in Loop: Header=BB0_3 Depth=1
	s_mov_b32 s5, 0
	.p2align	6
.LBB0_62:                               ;   Parent Loop BB0_3 Depth=1
                                        ; =>  This Inner Loop Header: Depth=2
	s_sleep 1
	s_clause 0x1
	global_load_b64 v[25:26], v10, s[2:3] offset:40
	global_load_b64 v[34:35], v10, s[2:3]
	v_dual_mov_b32 v27, v31 :: v_dual_mov_b32 v28, v32
	s_waitcnt vmcnt(1)
	s_delay_alu instid0(VALU_DEP_1) | instskip(SKIP_1) | instid1(VALU_DEP_1)
	v_and_b32_e32 v9, v25, v27
	s_waitcnt vmcnt(0)
	v_mad_u64_u32 v[31:32], null, v9, 24, v[34:35]
	s_delay_alu instid0(VALU_DEP_1) | instskip(NEXT) | instid1(VALU_DEP_1)
	v_dual_mov_b32 v9, v32 :: v_dual_and_b32 v34, v26, v28
	v_mad_u64_u32 v[25:26], null, v34, 24, v[9:10]
	s_delay_alu instid0(VALU_DEP_1)
	v_mov_b32_e32 v32, v25
	global_load_b64 v[25:26], v[31:32], off glc
	s_waitcnt vmcnt(0)
	global_atomic_cmpswap_b64 v[31:32], v10, v[25:28], s[2:3] offset:24 glc
	s_waitcnt vmcnt(0)
	buffer_gl1_inv
	buffer_gl0_inv
	v_cmp_eq_u64_e32 vcc_lo, v[31:32], v[27:28]
	s_or_b32 s5, vcc_lo, s5
	s_delay_alu instid0(SALU_CYCLE_1)
	s_and_not1_b32 exec_lo, exec_lo, s5
	s_cbranch_execnz .LBB0_62
; %bb.63:                               ;   in Loop: Header=BB0_3 Depth=1
	s_or_b32 exec_lo, exec_lo, s5
.LBB0_64:                               ;   in Loop: Header=BB0_3 Depth=1
	s_delay_alu instid0(SALU_CYCLE_1)
	s_or_b32 exec_lo, exec_lo, s4
.LBB0_65:                               ;   in Loop: Header=BB0_3 Depth=1
	s_delay_alu instid0(SALU_CYCLE_1)
	s_or_b32 exec_lo, exec_lo, s1
	s_waitcnt lgkmcnt(0)
	s_clause 0x1
	global_load_b64 v[34:35], v10, s[2:3] offset:40
	global_load_b128 v[25:28], v10, s[2:3]
	v_readfirstlane_b32 s4, v31
	v_readfirstlane_b32 s5, v32
	s_mov_b32 s1, exec_lo
	s_waitcnt vmcnt(1)
	v_readfirstlane_b32 s6, v34
	v_readfirstlane_b32 s7, v35
	s_delay_alu instid0(VALU_DEP_1) | instskip(NEXT) | instid1(SALU_CYCLE_1)
	s_and_b64 s[6:7], s[4:5], s[6:7]
	s_mul_i32 s13, s7, 24
	s_mul_hi_u32 s14, s6, 24
	s_mul_i32 s15, s6, 24
	s_add_i32 s14, s14, s13
	s_waitcnt vmcnt(0)
	v_add_co_u32 v31, vcc_lo, v25, s15
	v_add_co_ci_u32_e32 v32, vcc_lo, s14, v26, vcc_lo
	s_and_saveexec_b32 s13, s0
	s_cbranch_execz .LBB0_67
; %bb.66:                               ;   in Loop: Header=BB0_3 Depth=1
	v_mov_b32_e32 v9, s1
	global_store_b128 v[31:32], v[9:12], off offset:8
.LBB0_67:                               ;   in Loop: Header=BB0_3 Depth=1
	s_or_b32 exec_lo, exec_lo, s13
	v_cmp_lt_u64_e32 vcc_lo, 56, v[4:5]
	v_or_b32_e32 v9, 0, v1
	v_or_b32_e32 v34, v0, v6
	v_lshl_add_u32 v35, v29, 2, 28
	s_lshl_b64 s[6:7], s[6:7], 12
	s_delay_alu instid0(SALU_CYCLE_1) | instskip(NEXT) | instid1(VALU_DEP_1)
	v_add_co_u32 v27, s1, v27, s6
	v_add_co_ci_u32_e64 v28, s1, s7, v28, s1
	v_dual_cndmask_b32 v1, v9, v1 :: v_dual_cndmask_b32 v0, v34, v0
	v_and_b32_e32 v9, 0x1e0, v35
	v_lshlrev_b32_e32 v34, 6, v33
	v_readfirstlane_b32 s6, v27
	v_readfirstlane_b32 s7, v28
	s_delay_alu instid0(VALU_DEP_4)
	v_and_or_b32 v0, 0xffffff1f, v0, v9
	s_clause 0x3
	global_store_b128 v34, v[0:3], s[6:7]
	global_store_b128 v34, v[13:16], s[6:7] offset:16
	global_store_b128 v34, v[17:20], s[6:7] offset:32
	;; [unrolled: 1-line block ×3, first 2 shown]
	s_and_saveexec_b32 s1, s0
	s_cbranch_execz .LBB0_75
; %bb.68:                               ;   in Loop: Header=BB0_3 Depth=1
	s_clause 0x1
	global_load_b64 v[17:18], v10, s[2:3] offset:32 glc
	global_load_b64 v[0:1], v10, s[2:3] offset:40
	v_dual_mov_b32 v15, s4 :: v_dual_mov_b32 v16, s5
	s_waitcnt vmcnt(0)
	v_readfirstlane_b32 s6, v0
	v_readfirstlane_b32 s7, v1
	s_delay_alu instid0(VALU_DEP_1) | instskip(NEXT) | instid1(SALU_CYCLE_1)
	s_and_b64 s[6:7], s[6:7], s[4:5]
	s_mul_i32 s7, s7, 24
	s_mul_hi_u32 s13, s6, 24
	s_mul_i32 s6, s6, 24
	s_add_i32 s13, s13, s7
	v_add_co_u32 v13, vcc_lo, v25, s6
	v_add_co_ci_u32_e32 v14, vcc_lo, s13, v26, vcc_lo
	s_mov_b32 s6, exec_lo
	global_store_b64 v[13:14], v[17:18], off
	s_waitcnt_vscnt null, 0x0
	global_atomic_cmpswap_b64 v[2:3], v10, v[15:18], s[2:3] offset:32 glc
	s_waitcnt vmcnt(0)
	v_cmpx_ne_u64_e64 v[2:3], v[17:18]
	s_cbranch_execz .LBB0_71
; %bb.69:                               ;   in Loop: Header=BB0_3 Depth=1
	s_mov_b32 s7, 0
.LBB0_70:                               ;   Parent Loop BB0_3 Depth=1
                                        ; =>  This Inner Loop Header: Depth=2
	v_dual_mov_b32 v0, s4 :: v_dual_mov_b32 v1, s5
	s_sleep 1
	global_store_b64 v[13:14], v[2:3], off
	s_waitcnt_vscnt null, 0x0
	global_atomic_cmpswap_b64 v[0:1], v10, v[0:3], s[2:3] offset:32 glc
	s_waitcnt vmcnt(0)
	v_cmp_eq_u64_e32 vcc_lo, v[0:1], v[2:3]
	v_dual_mov_b32 v3, v1 :: v_dual_mov_b32 v2, v0
	s_or_b32 s7, vcc_lo, s7
	s_delay_alu instid0(SALU_CYCLE_1)
	s_and_not1_b32 exec_lo, exec_lo, s7
	s_cbranch_execnz .LBB0_70
.LBB0_71:                               ;   in Loop: Header=BB0_3 Depth=1
	s_or_b32 exec_lo, exec_lo, s6
	global_load_b64 v[0:1], v10, s[2:3] offset:16
	s_mov_b32 s7, exec_lo
	s_mov_b32 s6, exec_lo
	v_mbcnt_lo_u32_b32 v2, s7, 0
	s_delay_alu instid0(VALU_DEP_1)
	v_cmpx_eq_u32_e32 0, v2
	s_cbranch_execz .LBB0_73
; %bb.72:                               ;   in Loop: Header=BB0_3 Depth=1
	s_bcnt1_i32_b32 s7, s7
	s_delay_alu instid0(SALU_CYCLE_1)
	v_mov_b32_e32 v9, s7
	s_waitcnt vmcnt(0)
	global_atomic_add_u64 v[0:1], v[9:10], off offset:8
.LBB0_73:                               ;   in Loop: Header=BB0_3 Depth=1
	s_or_b32 exec_lo, exec_lo, s6
	s_waitcnt vmcnt(0)
	global_load_b64 v[2:3], v[0:1], off offset:16
	s_waitcnt vmcnt(0)
	v_cmp_eq_u64_e32 vcc_lo, 0, v[2:3]
	s_cbranch_vccnz .LBB0_75
; %bb.74:                               ;   in Loop: Header=BB0_3 Depth=1
	global_load_b32 v9, v[0:1], off offset:24
	s_waitcnt vmcnt(0)
	v_and_b32_e32 v0, 0xffffff, v9
	s_waitcnt_vscnt null, 0x0
	global_store_b64 v[2:3], v[9:10], off
	v_readfirstlane_b32 m0, v0
	s_sendmsg sendmsg(MSG_INTERRUPT)
.LBB0_75:                               ;   in Loop: Header=BB0_3 Depth=1
	s_or_b32 exec_lo, exec_lo, s1
	v_add_co_u32 v0, vcc_lo, v27, v34
	v_add_co_ci_u32_e32 v1, vcc_lo, 0, v28, vcc_lo
	s_branch .LBB0_79
	.p2align	6
.LBB0_76:                               ;   in Loop: Header=BB0_79 Depth=2
	s_or_b32 exec_lo, exec_lo, s1
	s_delay_alu instid0(VALU_DEP_1) | instskip(NEXT) | instid1(VALU_DEP_1)
	v_readfirstlane_b32 s1, v2
	s_cmp_eq_u32 s1, 0
	s_cbranch_scc1 .LBB0_78
; %bb.77:                               ;   in Loop: Header=BB0_79 Depth=2
	s_sleep 1
	s_cbranch_execnz .LBB0_79
	s_branch .LBB0_81
	.p2align	6
.LBB0_78:                               ;   in Loop: Header=BB0_3 Depth=1
	s_branch .LBB0_81
.LBB0_79:                               ;   Parent Loop BB0_3 Depth=1
                                        ; =>  This Inner Loop Header: Depth=2
	v_mov_b32_e32 v2, 1
	s_and_saveexec_b32 s1, s0
	s_cbranch_execz .LBB0_76
; %bb.80:                               ;   in Loop: Header=BB0_79 Depth=2
	global_load_b32 v2, v[31:32], off offset:20 glc
	s_waitcnt vmcnt(0)
	buffer_gl1_inv
	buffer_gl0_inv
	v_and_b32_e32 v2, 1, v2
	s_branch .LBB0_76
.LBB0_81:                               ;   in Loop: Header=BB0_3 Depth=1
	global_load_b128 v[0:3], v[0:1], off
	s_and_saveexec_b32 s1, s0
	s_cbranch_execz .LBB0_2
; %bb.82:                               ;   in Loop: Header=BB0_3 Depth=1
	s_clause 0x2
	global_load_b64 v[2:3], v10, s[2:3] offset:40
	global_load_b64 v[17:18], v10, s[2:3] offset:24 glc
	global_load_b64 v[15:16], v10, s[2:3]
	s_waitcnt vmcnt(2)
	v_add_co_u32 v9, vcc_lo, v2, 1
	v_add_co_ci_u32_e32 v19, vcc_lo, 0, v3, vcc_lo
	s_delay_alu instid0(VALU_DEP_2) | instskip(NEXT) | instid1(VALU_DEP_2)
	v_add_co_u32 v13, vcc_lo, v9, s4
	v_add_co_ci_u32_e32 v14, vcc_lo, s5, v19, vcc_lo
	s_delay_alu instid0(VALU_DEP_1) | instskip(SKIP_1) | instid1(VALU_DEP_1)
	v_cmp_eq_u64_e32 vcc_lo, 0, v[13:14]
	v_dual_cndmask_b32 v14, v14, v19 :: v_dual_cndmask_b32 v13, v13, v9
	v_and_b32_e32 v3, v14, v3
	s_delay_alu instid0(VALU_DEP_2) | instskip(NEXT) | instid1(VALU_DEP_2)
	v_and_b32_e32 v2, v13, v2
	v_mul_lo_u32 v3, v3, 24
	s_delay_alu instid0(VALU_DEP_2) | instskip(SKIP_1) | instid1(VALU_DEP_2)
	v_mul_hi_u32 v9, v2, 24
	v_mul_lo_u32 v2, v2, 24
	v_add_nc_u32_e32 v3, v9, v3
	s_waitcnt vmcnt(0)
	s_delay_alu instid0(VALU_DEP_2) | instskip(SKIP_1) | instid1(VALU_DEP_3)
	v_add_co_u32 v2, vcc_lo, v15, v2
	v_mov_b32_e32 v15, v17
	v_add_co_ci_u32_e32 v3, vcc_lo, v16, v3, vcc_lo
	v_mov_b32_e32 v16, v18
	global_store_b64 v[2:3], v[17:18], off
	s_waitcnt_vscnt null, 0x0
	global_atomic_cmpswap_b64 v[15:16], v10, v[13:16], s[2:3] offset:24 glc
	s_waitcnt vmcnt(0)
	v_cmp_ne_u64_e32 vcc_lo, v[15:16], v[17:18]
	s_and_b32 exec_lo, exec_lo, vcc_lo
	s_cbranch_execz .LBB0_2
; %bb.83:                               ;   in Loop: Header=BB0_3 Depth=1
	s_mov_b32 s0, 0
.LBB0_84:                               ;   Parent Loop BB0_3 Depth=1
                                        ; =>  This Inner Loop Header: Depth=2
	s_sleep 1
	global_store_b64 v[2:3], v[15:16], off
	s_waitcnt_vscnt null, 0x0
	global_atomic_cmpswap_b64 v[17:18], v10, v[13:16], s[2:3] offset:24 glc
	s_waitcnt vmcnt(0)
	v_cmp_eq_u64_e32 vcc_lo, v[17:18], v[15:16]
	v_dual_mov_b32 v15, v17 :: v_dual_mov_b32 v16, v18
	s_or_b32 s0, vcc_lo, s0
	s_delay_alu instid0(SALU_CYCLE_1)
	s_and_not1_b32 exec_lo, exec_lo, s0
	s_cbranch_execnz .LBB0_84
	s_branch .LBB0_2
.LBB0_85:
	s_or_b32 exec_lo, exec_lo, s12
                                        ; implicit-def: $vgpr0
                                        ; implicit-def: $vgpr33
                                        ; implicit-def: $vgpr1
.LBB0_86:
	s_and_not1_saveexec_b32 s1, s10
	s_cbranch_execz .LBB0_108
; %bb.87:
	s_load_b64 s[2:3], s[8:9], 0x50
	v_readfirstlane_b32 s0, v33
	v_mov_b32_e32 v8, 0
	v_mov_b32_e32 v9, 0
	s_delay_alu instid0(VALU_DEP_3) | instskip(NEXT) | instid1(VALU_DEP_1)
	v_cmp_eq_u32_e64 s0, s0, v33
	s_and_saveexec_b32 s4, s0
	s_cbranch_execz .LBB0_93
; %bb.88:
	s_waitcnt vmcnt(0)
	v_mov_b32_e32 v2, 0
	s_mov_b32 s5, exec_lo
	s_waitcnt lgkmcnt(0)
	global_load_b64 v[5:6], v2, s[2:3] offset:24 glc
	s_waitcnt vmcnt(0)
	buffer_gl1_inv
	buffer_gl0_inv
	s_clause 0x1
	global_load_b64 v[3:4], v2, s[2:3] offset:40
	global_load_b64 v[7:8], v2, s[2:3]
	s_waitcnt vmcnt(1)
	v_and_b32_e32 v3, v3, v5
	v_and_b32_e32 v4, v4, v6
	s_delay_alu instid0(VALU_DEP_2) | instskip(NEXT) | instid1(VALU_DEP_2)
	v_mul_hi_u32 v9, v3, 24
	v_mul_lo_u32 v4, v4, 24
	v_mul_lo_u32 v3, v3, 24
	s_delay_alu instid0(VALU_DEP_2) | instskip(SKIP_1) | instid1(VALU_DEP_2)
	v_add_nc_u32_e32 v4, v9, v4
	s_waitcnt vmcnt(0)
	v_add_co_u32 v3, vcc_lo, v7, v3
	s_delay_alu instid0(VALU_DEP_2)
	v_add_co_ci_u32_e32 v4, vcc_lo, v8, v4, vcc_lo
	global_load_b64 v[3:4], v[3:4], off glc
	s_waitcnt vmcnt(0)
	global_atomic_cmpswap_b64 v[8:9], v2, v[3:6], s[2:3] offset:24 glc
	s_waitcnt vmcnt(0)
	buffer_gl1_inv
	buffer_gl0_inv
	v_cmpx_ne_u64_e64 v[8:9], v[5:6]
	s_cbranch_execz .LBB0_92
; %bb.89:
	s_mov_b32 s6, 0
	.p2align	6
.LBB0_90:                               ; =>This Inner Loop Header: Depth=1
	s_sleep 1
	s_clause 0x1
	global_load_b64 v[3:4], v2, s[2:3] offset:40
	global_load_b64 v[10:11], v2, s[2:3]
	v_dual_mov_b32 v5, v8 :: v_dual_mov_b32 v6, v9
	s_waitcnt vmcnt(1)
	s_delay_alu instid0(VALU_DEP_1) | instskip(NEXT) | instid1(VALU_DEP_2)
	v_and_b32_e32 v3, v3, v5
	v_and_b32_e32 v4, v4, v6
	s_waitcnt vmcnt(0)
	s_delay_alu instid0(VALU_DEP_2) | instskip(NEXT) | instid1(VALU_DEP_1)
	v_mad_u64_u32 v[7:8], null, v3, 24, v[10:11]
	v_mov_b32_e32 v3, v8
	s_delay_alu instid0(VALU_DEP_1)
	v_mad_u64_u32 v[8:9], null, v4, 24, v[3:4]
	global_load_b64 v[3:4], v[7:8], off glc
	s_waitcnt vmcnt(0)
	global_atomic_cmpswap_b64 v[8:9], v2, v[3:6], s[2:3] offset:24 glc
	s_waitcnt vmcnt(0)
	buffer_gl1_inv
	buffer_gl0_inv
	v_cmp_eq_u64_e32 vcc_lo, v[8:9], v[5:6]
	s_or_b32 s6, vcc_lo, s6
	s_delay_alu instid0(SALU_CYCLE_1)
	s_and_not1_b32 exec_lo, exec_lo, s6
	s_cbranch_execnz .LBB0_90
; %bb.91:
	s_or_b32 exec_lo, exec_lo, s6
.LBB0_92:
	s_delay_alu instid0(SALU_CYCLE_1)
	s_or_b32 exec_lo, exec_lo, s5
.LBB0_93:
	s_delay_alu instid0(SALU_CYCLE_1)
	s_or_b32 exec_lo, exec_lo, s4
	s_waitcnt vmcnt(0)
	v_mov_b32_e32 v2, 0
	v_readfirstlane_b32 s4, v8
	v_readfirstlane_b32 s5, v9
	s_mov_b32 s8, exec_lo
	s_waitcnt lgkmcnt(0)
	s_clause 0x1
	global_load_b64 v[10:11], v2, s[2:3] offset:40
	global_load_b128 v[4:7], v2, s[2:3]
	s_waitcnt vmcnt(1)
	v_readfirstlane_b32 s6, v10
	v_readfirstlane_b32 s7, v11
	s_delay_alu instid0(VALU_DEP_1) | instskip(NEXT) | instid1(SALU_CYCLE_1)
	s_and_b64 s[6:7], s[4:5], s[6:7]
	s_mul_i32 s9, s7, 24
	s_mul_hi_u32 s10, s6, 24
	s_mul_i32 s11, s6, 24
	s_add_i32 s10, s10, s9
	s_waitcnt vmcnt(0)
	v_add_co_u32 v8, vcc_lo, v4, s11
	v_add_co_ci_u32_e32 v9, vcc_lo, s10, v5, vcc_lo
	s_and_saveexec_b32 s9, s0
	s_cbranch_execz .LBB0_95
; %bb.94:
	v_dual_mov_b32 v10, s8 :: v_dual_mov_b32 v11, v2
	v_dual_mov_b32 v12, 2 :: v_dual_mov_b32 v13, 1
	global_store_b128 v[8:9], v[10:13], off offset:8
.LBB0_95:
	s_or_b32 exec_lo, exec_lo, s9
	s_lshl_b64 s[6:7], s[6:7], 12
	s_mov_b32 s8, 0
	v_add_co_u32 v6, vcc_lo, v6, s6
	v_add_co_ci_u32_e32 v7, vcc_lo, s7, v7, vcc_lo
	s_mov_b32 s11, s8
	s_mov_b32 s9, s8
	;; [unrolled: 1-line block ×3, first 2 shown]
	v_and_or_b32 v0, 0xffffff1f, v0, 32
	v_dual_mov_b32 v3, v2 :: v_dual_lshlrev_b32 v14, 6, v33
	v_readfirstlane_b32 s6, v6
	v_readfirstlane_b32 s7, v7
	v_dual_mov_b32 v13, s11 :: v_dual_mov_b32 v12, s10
	v_dual_mov_b32 v11, s9 :: v_dual_mov_b32 v10, s8
	s_clause 0x3
	global_store_b128 v14, v[0:3], s[6:7]
	global_store_b128 v14, v[10:13], s[6:7] offset:16
	global_store_b128 v14, v[10:13], s[6:7] offset:32
	;; [unrolled: 1-line block ×3, first 2 shown]
	s_and_saveexec_b32 s6, s0
	s_cbranch_execz .LBB0_102
; %bb.96:
	v_mov_b32_e32 v6, 0
	s_mov_b32 s7, exec_lo
	s_clause 0x1
	global_load_b64 v[12:13], v6, s[2:3] offset:32 glc
	global_load_b64 v[0:1], v6, s[2:3] offset:40
	v_dual_mov_b32 v11, s5 :: v_dual_mov_b32 v10, s4
	s_waitcnt vmcnt(0)
	v_and_b32_e32 v1, s5, v1
	v_and_b32_e32 v0, s4, v0
	s_delay_alu instid0(VALU_DEP_2) | instskip(NEXT) | instid1(VALU_DEP_2)
	v_mul_lo_u32 v1, v1, 24
	v_mul_hi_u32 v2, v0, 24
	v_mul_lo_u32 v0, v0, 24
	s_delay_alu instid0(VALU_DEP_2) | instskip(NEXT) | instid1(VALU_DEP_2)
	v_add_nc_u32_e32 v1, v2, v1
	v_add_co_u32 v4, vcc_lo, v4, v0
	s_delay_alu instid0(VALU_DEP_2)
	v_add_co_ci_u32_e32 v5, vcc_lo, v5, v1, vcc_lo
	global_store_b64 v[4:5], v[12:13], off
	s_waitcnt_vscnt null, 0x0
	global_atomic_cmpswap_b64 v[2:3], v6, v[10:13], s[2:3] offset:32 glc
	s_waitcnt vmcnt(0)
	v_cmpx_ne_u64_e64 v[2:3], v[12:13]
	s_cbranch_execz .LBB0_98
.LBB0_97:                               ; =>This Inner Loop Header: Depth=1
	v_dual_mov_b32 v0, s4 :: v_dual_mov_b32 v1, s5
	s_sleep 1
	global_store_b64 v[4:5], v[2:3], off
	s_waitcnt_vscnt null, 0x0
	global_atomic_cmpswap_b64 v[0:1], v6, v[0:3], s[2:3] offset:32 glc
	s_waitcnt vmcnt(0)
	v_cmp_eq_u64_e32 vcc_lo, v[0:1], v[2:3]
	v_dual_mov_b32 v3, v1 :: v_dual_mov_b32 v2, v0
	s_or_b32 s8, vcc_lo, s8
	s_delay_alu instid0(SALU_CYCLE_1)
	s_and_not1_b32 exec_lo, exec_lo, s8
	s_cbranch_execnz .LBB0_97
.LBB0_98:
	s_or_b32 exec_lo, exec_lo, s7
	v_mov_b32_e32 v3, 0
	s_mov_b32 s8, exec_lo
	s_mov_b32 s7, exec_lo
	v_mbcnt_lo_u32_b32 v2, s8, 0
	global_load_b64 v[0:1], v3, s[2:3] offset:16
	v_cmpx_eq_u32_e32 0, v2
	s_cbranch_execz .LBB0_100
; %bb.99:
	s_bcnt1_i32_b32 s8, s8
	s_delay_alu instid0(SALU_CYCLE_1)
	v_mov_b32_e32 v2, s8
	s_waitcnt vmcnt(0)
	global_atomic_add_u64 v[0:1], v[2:3], off offset:8
.LBB0_100:
	s_or_b32 exec_lo, exec_lo, s7
	s_waitcnt vmcnt(0)
	global_load_b64 v[2:3], v[0:1], off offset:16
	s_waitcnt vmcnt(0)
	v_cmp_eq_u64_e32 vcc_lo, 0, v[2:3]
	s_cbranch_vccnz .LBB0_102
; %bb.101:
	global_load_b32 v0, v[0:1], off offset:24
	s_waitcnt vmcnt(0)
	v_dual_mov_b32 v1, 0 :: v_dual_and_b32 v4, 0xffffff, v0
	s_waitcnt_vscnt null, 0x0
	global_store_b64 v[2:3], v[0:1], off
	v_readfirstlane_b32 m0, v4
	s_sendmsg sendmsg(MSG_INTERRUPT)
.LBB0_102:
	s_or_b32 exec_lo, exec_lo, s6
	s_branch .LBB0_106
	.p2align	6
.LBB0_103:                              ;   in Loop: Header=BB0_106 Depth=1
	s_or_b32 exec_lo, exec_lo, s6
	s_delay_alu instid0(VALU_DEP_1) | instskip(NEXT) | instid1(VALU_DEP_1)
	v_readfirstlane_b32 s6, v0
	s_cmp_eq_u32 s6, 0
	s_cbranch_scc1 .LBB0_105
; %bb.104:                              ;   in Loop: Header=BB0_106 Depth=1
	s_sleep 1
	s_cbranch_execnz .LBB0_106
	s_branch .LBB0_109
	.p2align	6
.LBB0_105:
	s_branch .LBB0_109
.LBB0_106:                              ; =>This Inner Loop Header: Depth=1
	v_mov_b32_e32 v0, 1
	s_and_saveexec_b32 s6, s0
	s_cbranch_execz .LBB0_103
; %bb.107:                              ;   in Loop: Header=BB0_106 Depth=1
	global_load_b32 v0, v[8:9], off offset:20 glc
	s_waitcnt vmcnt(0)
	buffer_gl1_inv
	buffer_gl0_inv
	v_and_b32_e32 v0, 1, v0
	s_branch .LBB0_103
.LBB0_108:
	s_or_b32 exec_lo, exec_lo, s1
	s_waitcnt vmcnt(0) lgkmcnt(0)
	s_setpc_b64 s[30:31]
.LBB0_109:
	s_and_saveexec_b32 s6, s0
	s_cbranch_execz .LBB0_113
; %bb.110:
	v_mov_b32_e32 v6, 0
	s_clause 0x2
	global_load_b64 v[2:3], v6, s[2:3] offset:40
	global_load_b64 v[7:8], v6, s[2:3] offset:24 glc
	global_load_b64 v[4:5], v6, s[2:3]
	s_waitcnt vmcnt(2)
	v_add_co_u32 v9, vcc_lo, v2, 1
	v_add_co_ci_u32_e32 v10, vcc_lo, 0, v3, vcc_lo
	s_delay_alu instid0(VALU_DEP_2) | instskip(NEXT) | instid1(VALU_DEP_2)
	v_add_co_u32 v0, vcc_lo, v9, s4
	v_add_co_ci_u32_e32 v1, vcc_lo, s5, v10, vcc_lo
	s_delay_alu instid0(VALU_DEP_1) | instskip(SKIP_1) | instid1(VALU_DEP_1)
	v_cmp_eq_u64_e32 vcc_lo, 0, v[0:1]
	v_dual_cndmask_b32 v1, v1, v10 :: v_dual_cndmask_b32 v0, v0, v9
	v_and_b32_e32 v3, v1, v3
	s_delay_alu instid0(VALU_DEP_2) | instskip(NEXT) | instid1(VALU_DEP_2)
	v_and_b32_e32 v2, v0, v2
	v_mul_lo_u32 v3, v3, 24
	s_delay_alu instid0(VALU_DEP_2) | instskip(SKIP_1) | instid1(VALU_DEP_2)
	v_mul_hi_u32 v9, v2, 24
	v_mul_lo_u32 v2, v2, 24
	v_add_nc_u32_e32 v3, v9, v3
	s_waitcnt vmcnt(0)
	s_delay_alu instid0(VALU_DEP_2) | instskip(SKIP_1) | instid1(VALU_DEP_3)
	v_add_co_u32 v4, vcc_lo, v4, v2
	v_mov_b32_e32 v2, v7
	v_add_co_ci_u32_e32 v5, vcc_lo, v5, v3, vcc_lo
	v_mov_b32_e32 v3, v8
	global_store_b64 v[4:5], v[7:8], off
	s_waitcnt_vscnt null, 0x0
	global_atomic_cmpswap_b64 v[2:3], v6, v[0:3], s[2:3] offset:24 glc
	s_waitcnt vmcnt(0)
	v_cmp_ne_u64_e32 vcc_lo, v[2:3], v[7:8]
	s_and_b32 exec_lo, exec_lo, vcc_lo
	s_cbranch_execz .LBB0_113
; %bb.111:
	s_mov_b32 s0, 0
.LBB0_112:                              ; =>This Inner Loop Header: Depth=1
	s_sleep 1
	global_store_b64 v[4:5], v[2:3], off
	s_waitcnt_vscnt null, 0x0
	global_atomic_cmpswap_b64 v[7:8], v6, v[0:3], s[2:3] offset:24 glc
	s_waitcnt vmcnt(0)
	v_cmp_eq_u64_e32 vcc_lo, v[7:8], v[2:3]
	v_dual_mov_b32 v2, v7 :: v_dual_mov_b32 v3, v8
	s_or_b32 s0, vcc_lo, s0
	s_delay_alu instid0(SALU_CYCLE_1)
	s_and_not1_b32 exec_lo, exec_lo, s0
	s_cbranch_execnz .LBB0_112
.LBB0_113:
	s_or_b32 exec_lo, exec_lo, s6
	s_delay_alu instid0(SALU_CYCLE_1)
	s_or_b32 exec_lo, exec_lo, s1
	s_waitcnt lgkmcnt(0)
	s_setpc_b64 s[30:31]
.Lfunc_end0:
	.size	__ockl_fprintf_append_string_n, .Lfunc_end0-__ockl_fprintf_append_string_n
                                        ; -- End function
	.section	.AMDGPU.csdata,"",@progbits
; Function info:
; codeLenInByte = 4740
; NumSgprs: 34
; NumVgprs: 36
; ScratchSize: 0
; MemoryBound: 0
	.text
	.p2align	2                               ; -- Begin function __assert_fail
	.type	__assert_fail,@function
__assert_fail:                          ; @__assert_fail
; %bb.0:
	s_waitcnt vmcnt(0) expcnt(0) lgkmcnt(0)
	s_mov_b32 s20, s33
	s_mov_b32 s33, s32
	s_or_saveexec_b32 s0, -1
	scratch_store_b32 off, v40, s33 offset:48 ; 4-byte Folded Spill
	s_mov_b32 exec_lo, s0
	v_writelane_b32 v40, s30, 0
	s_add_i32 s32, s32, 64
	v_writelane_b32 v40, s31, 1
	s_getpc_b64 s[0:1]
	s_add_u32 s0, s0, __const.__assert_fail.fmt@rel32@lo+4
	s_addc_u32 s1, s1, __const.__assert_fail.fmt@rel32@hi+12
	s_getpc_b64 s[2:3]
	s_add_u32 s2, s2, __const.__assert_fail.fmt@rel32@lo+20
	s_addc_u32 s3, s3, __const.__assert_fail.fmt@rel32@hi+28
	v_mbcnt_lo_u32_b32 v35, -1, 0
	s_clause 0x1
	s_load_b128 s[4:7], s[0:1], 0x0
	s_load_b128 s[12:15], s[2:3], 0x0
	s_load_b64 s[2:3], s[8:9], 0x50
	v_dual_mov_b32 v5, v1 :: v_dual_mov_b32 v4, v0
	v_mov_b32_e32 v14, 0x73256020
	v_readfirstlane_b32 s0, v35
	v_mov_b32_e32 v0, 0
	v_dual_mov_b32 v2, 0 :: v_dual_mov_b32 v3, 0xa2e
	v_mov_b32_e32 v15, 0x61662027
	v_dual_mov_b32 v16, 0x64656c69 :: v_dual_mov_b32 v1, 0
	v_cmp_eq_u32_e64 s0, s0, v35
	s_waitcnt lgkmcnt(0)
	v_dual_mov_b32 v9, s7 :: v_dual_mov_b32 v8, s6
	v_dual_mov_b32 v7, s5 :: v_dual_mov_b32 v6, s4
	;; [unrolled: 1-line block ×4, first 2 shown]
	s_clause 0x4
	scratch_store_b128 off, v[6:9], s33
	scratch_store_b128 off, v[10:13], s33 offset:16
	scratch_store_b8 off, v2, s33 offset:46
	scratch_store_b16 off, v3, s33 offset:44
	scratch_store_b96 off, v[14:16], s33 offset:32
	s_and_saveexec_b32 s1, s0
	s_cbranch_execz .LBB1_6
; %bb.1:
	global_load_b64 v[8:9], v2, s[2:3] offset:24 glc
	s_waitcnt vmcnt(0)
	buffer_gl1_inv
	buffer_gl0_inv
	s_clause 0x1
	global_load_b64 v[0:1], v2, s[2:3] offset:40
	global_load_b64 v[6:7], v2, s[2:3]
	s_mov_b32 s4, exec_lo
	s_waitcnt vmcnt(1)
	v_and_b32_e32 v1, v1, v9
	v_and_b32_e32 v0, v0, v8
	s_delay_alu instid0(VALU_DEP_2) | instskip(NEXT) | instid1(VALU_DEP_2)
	v_mul_lo_u32 v1, v1, 24
	v_mul_hi_u32 v3, v0, 24
	v_mul_lo_u32 v0, v0, 24
	s_delay_alu instid0(VALU_DEP_2) | instskip(SKIP_1) | instid1(VALU_DEP_2)
	v_add_nc_u32_e32 v1, v3, v1
	s_waitcnt vmcnt(0)
	v_add_co_u32 v0, vcc_lo, v6, v0
	s_delay_alu instid0(VALU_DEP_2)
	v_add_co_ci_u32_e32 v1, vcc_lo, v7, v1, vcc_lo
	global_load_b64 v[6:7], v[0:1], off glc
	s_waitcnt vmcnt(0)
	global_atomic_cmpswap_b64 v[0:1], v2, v[6:9], s[2:3] offset:24 glc
	s_waitcnt vmcnt(0)
	buffer_gl1_inv
	buffer_gl0_inv
	v_cmpx_ne_u64_e64 v[0:1], v[8:9]
	s_cbranch_execz .LBB1_5
; %bb.2:
	s_mov_b32 s5, 0
	.p2align	6
.LBB1_3:                                ; =>This Inner Loop Header: Depth=1
	s_sleep 1
	s_clause 0x1
	global_load_b64 v[6:7], v2, s[2:3] offset:40
	global_load_b64 v[10:11], v2, s[2:3]
	v_dual_mov_b32 v9, v1 :: v_dual_mov_b32 v8, v0
	s_waitcnt vmcnt(1)
	s_delay_alu instid0(VALU_DEP_1) | instskip(SKIP_1) | instid1(VALU_DEP_1)
	v_and_b32_e32 v3, v6, v8
	s_waitcnt vmcnt(0)
	v_mad_u64_u32 v[0:1], null, v3, 24, v[10:11]
	v_and_b32_e32 v3, v7, v9
	s_delay_alu instid0(VALU_DEP_1) | instskip(NEXT) | instid1(VALU_DEP_1)
	v_mad_u64_u32 v[6:7], null, v3, 24, v[1:2]
	v_mov_b32_e32 v1, v6
	global_load_b64 v[6:7], v[0:1], off glc
	s_waitcnt vmcnt(0)
	global_atomic_cmpswap_b64 v[0:1], v2, v[6:9], s[2:3] offset:24 glc
	s_waitcnt vmcnt(0)
	buffer_gl1_inv
	buffer_gl0_inv
	v_cmp_eq_u64_e32 vcc_lo, v[0:1], v[8:9]
	s_or_b32 s5, vcc_lo, s5
	s_delay_alu instid0(SALU_CYCLE_1)
	s_and_not1_b32 exec_lo, exec_lo, s5
	s_cbranch_execnz .LBB1_3
; %bb.4:
	s_or_b32 exec_lo, exec_lo, s5
.LBB1_5:
	s_delay_alu instid0(SALU_CYCLE_1)
	s_or_b32 exec_lo, exec_lo, s4
.LBB1_6:
	s_delay_alu instid0(SALU_CYCLE_1)
	s_or_b32 exec_lo, exec_lo, s1
	s_clause 0x1
	global_load_b64 v[10:11], v2, s[2:3] offset:40
	global_load_b128 v[6:9], v2, s[2:3]
	v_readfirstlane_b32 s4, v0
	v_readfirstlane_b32 s5, v1
	s_mov_b32 s1, exec_lo
	s_waitcnt vmcnt(1)
	v_readfirstlane_b32 s6, v10
	v_readfirstlane_b32 s7, v11
	s_delay_alu instid0(VALU_DEP_1) | instskip(NEXT) | instid1(SALU_CYCLE_1)
	s_and_b64 s[6:7], s[4:5], s[6:7]
	s_mul_i32 s10, s7, 24
	s_mul_hi_u32 s11, s6, 24
	s_mul_i32 s12, s6, 24
	s_add_i32 s11, s11, s10
	s_waitcnt vmcnt(0)
	v_add_co_u32 v10, vcc_lo, v6, s12
	v_add_co_ci_u32_e32 v11, vcc_lo, s11, v7, vcc_lo
	s_and_saveexec_b32 s10, s0
	s_cbranch_execz .LBB1_8
; %bb.7:
	v_dual_mov_b32 v0, s1 :: v_dual_mov_b32 v1, 0
	v_dual_mov_b32 v2, 2 :: v_dual_mov_b32 v3, 1
	global_store_b128 v[10:11], v[0:3], off offset:8
.LBB1_8:
	s_or_b32 exec_lo, exec_lo, s10
	s_lshl_b64 s[6:7], s[6:7], 12
	v_dual_mov_b32 v1, 0 :: v_dual_lshlrev_b32 v34, 6, v35
	v_add_co_u32 v8, vcc_lo, v8, s6
	v_add_co_ci_u32_e32 v9, vcc_lo, s7, v9, vcc_lo
	s_mov_b32 s12, 0
	s_delay_alu instid0(VALU_DEP_2)
	v_add_co_u32 v12, vcc_lo, v8, v34
	s_mov_b32 s15, s12
	s_mov_b32 s13, s12
	;; [unrolled: 1-line block ×3, first 2 shown]
	v_dual_mov_b32 v0, 33 :: v_dual_mov_b32 v3, v1
	v_dual_mov_b32 v2, 1 :: v_dual_mov_b32 v17, s15
	v_readfirstlane_b32 s6, v8
	v_readfirstlane_b32 s7, v9
	v_add_co_ci_u32_e32 v13, vcc_lo, 0, v9, vcc_lo
	v_dual_mov_b32 v16, s14 :: v_dual_mov_b32 v15, s13
	v_mov_b32_e32 v14, s12
	s_clause 0x3
	global_store_b128 v34, v[0:3], s[6:7]
	global_store_b128 v34, v[14:17], s[6:7] offset:16
	global_store_b128 v34, v[14:17], s[6:7] offset:32
	;; [unrolled: 1-line block ×3, first 2 shown]
	s_and_saveexec_b32 s1, s0
	s_cbranch_execz .LBB1_16
; %bb.9:
	s_clause 0x1
	global_load_b64 v[16:17], v1, s[2:3] offset:32 glc
	global_load_b64 v[2:3], v1, s[2:3] offset:40
	v_mov_b32_e32 v14, s4
	s_mov_b32 s6, exec_lo
	s_waitcnt vmcnt(0)
	v_dual_mov_b32 v15, s5 :: v_dual_and_b32 v0, s5, v3
	v_and_b32_e32 v2, s4, v2
	s_delay_alu instid0(VALU_DEP_2) | instskip(NEXT) | instid1(VALU_DEP_2)
	v_mul_lo_u32 v0, v0, 24
	v_mul_hi_u32 v3, v2, 24
	v_mul_lo_u32 v2, v2, 24
	s_delay_alu instid0(VALU_DEP_2) | instskip(NEXT) | instid1(VALU_DEP_2)
	v_add_nc_u32_e32 v0, v3, v0
	v_add_co_u32 v2, vcc_lo, v6, v2
	s_delay_alu instid0(VALU_DEP_2)
	v_add_co_ci_u32_e32 v3, vcc_lo, v7, v0, vcc_lo
	global_store_b64 v[2:3], v[16:17], off
	s_waitcnt_vscnt null, 0x0
	global_atomic_cmpswap_b64 v[8:9], v1, v[14:17], s[2:3] offset:32 glc
	s_waitcnt vmcnt(0)
	v_cmpx_ne_u64_e64 v[8:9], v[16:17]
	s_cbranch_execz .LBB1_12
; %bb.10:
	s_mov_b32 s7, 0
.LBB1_11:                               ; =>This Inner Loop Header: Depth=1
	v_dual_mov_b32 v6, s4 :: v_dual_mov_b32 v7, s5
	s_sleep 1
	global_store_b64 v[2:3], v[8:9], off
	s_waitcnt_vscnt null, 0x0
	global_atomic_cmpswap_b64 v[6:7], v1, v[6:9], s[2:3] offset:32 glc
	s_waitcnt vmcnt(0)
	v_cmp_eq_u64_e32 vcc_lo, v[6:7], v[8:9]
	v_dual_mov_b32 v9, v7 :: v_dual_mov_b32 v8, v6
	s_or_b32 s7, vcc_lo, s7
	s_delay_alu instid0(SALU_CYCLE_1)
	s_and_not1_b32 exec_lo, exec_lo, s7
	s_cbranch_execnz .LBB1_11
.LBB1_12:
	s_or_b32 exec_lo, exec_lo, s6
	v_mov_b32_e32 v3, 0
	s_mov_b32 s7, exec_lo
	s_mov_b32 s6, exec_lo
	v_mbcnt_lo_u32_b32 v2, s7, 0
	global_load_b64 v[0:1], v3, s[2:3] offset:16
	v_cmpx_eq_u32_e32 0, v2
	s_cbranch_execz .LBB1_14
; %bb.13:
	s_bcnt1_i32_b32 s7, s7
	s_delay_alu instid0(SALU_CYCLE_1)
	v_mov_b32_e32 v2, s7
	s_waitcnt vmcnt(0)
	global_atomic_add_u64 v[0:1], v[2:3], off offset:8
.LBB1_14:
	s_or_b32 exec_lo, exec_lo, s6
	s_waitcnt vmcnt(0)
	global_load_b64 v[2:3], v[0:1], off offset:16
	s_waitcnt vmcnt(0)
	v_cmp_eq_u64_e32 vcc_lo, 0, v[2:3]
	s_cbranch_vccnz .LBB1_16
; %bb.15:
	global_load_b32 v0, v[0:1], off offset:24
	s_waitcnt vmcnt(0)
	v_dual_mov_b32 v1, 0 :: v_dual_and_b32 v6, 0xffffff, v0
	s_waitcnt_vscnt null, 0x0
	global_store_b64 v[2:3], v[0:1], off
	v_readfirstlane_b32 m0, v6
	s_sendmsg sendmsg(MSG_INTERRUPT)
.LBB1_16:
	s_or_b32 exec_lo, exec_lo, s1
	s_branch .LBB1_20
	.p2align	6
.LBB1_17:                               ;   in Loop: Header=BB1_20 Depth=1
	s_or_b32 exec_lo, exec_lo, s1
	s_delay_alu instid0(VALU_DEP_1) | instskip(NEXT) | instid1(VALU_DEP_1)
	v_readfirstlane_b32 s1, v0
	s_cmp_eq_u32 s1, 0
	s_cbranch_scc1 .LBB1_19
; %bb.18:                               ;   in Loop: Header=BB1_20 Depth=1
	s_sleep 1
	s_cbranch_execnz .LBB1_20
	s_branch .LBB1_22
	.p2align	6
.LBB1_19:
	s_branch .LBB1_22
.LBB1_20:                               ; =>This Inner Loop Header: Depth=1
	v_mov_b32_e32 v0, 1
	s_and_saveexec_b32 s1, s0
	s_cbranch_execz .LBB1_17
; %bb.21:                               ;   in Loop: Header=BB1_20 Depth=1
	global_load_b32 v0, v[10:11], off offset:20 glc
	s_waitcnt vmcnt(0)
	buffer_gl1_inv
	buffer_gl0_inv
	v_and_b32_e32 v0, 1, v0
	s_branch .LBB1_17
.LBB1_22:
	global_load_b64 v[6:7], v[12:13], off
	s_and_saveexec_b32 s1, s0
	s_cbranch_execz .LBB1_26
; %bb.23:
	v_mov_b32_e32 v10, 0
	s_clause 0x2
	global_load_b64 v[2:3], v10, s[2:3] offset:40
	global_load_b64 v[11:12], v10, s[2:3] offset:24 glc
	global_load_b64 v[8:9], v10, s[2:3]
	s_waitcnt vmcnt(2)
	v_add_co_u32 v13, vcc_lo, v2, 1
	v_add_co_ci_u32_e32 v14, vcc_lo, 0, v3, vcc_lo
	s_delay_alu instid0(VALU_DEP_2) | instskip(NEXT) | instid1(VALU_DEP_2)
	v_add_co_u32 v0, vcc_lo, v13, s4
	v_add_co_ci_u32_e32 v1, vcc_lo, s5, v14, vcc_lo
	s_delay_alu instid0(VALU_DEP_1) | instskip(SKIP_1) | instid1(VALU_DEP_1)
	v_cmp_eq_u64_e32 vcc_lo, 0, v[0:1]
	v_dual_cndmask_b32 v1, v1, v14 :: v_dual_cndmask_b32 v0, v0, v13
	v_and_b32_e32 v3, v1, v3
	s_delay_alu instid0(VALU_DEP_2) | instskip(NEXT) | instid1(VALU_DEP_2)
	v_and_b32_e32 v2, v0, v2
	v_mul_lo_u32 v3, v3, 24
	s_delay_alu instid0(VALU_DEP_2) | instskip(SKIP_1) | instid1(VALU_DEP_2)
	v_mul_hi_u32 v13, v2, 24
	v_mul_lo_u32 v2, v2, 24
	v_add_nc_u32_e32 v3, v13, v3
	s_waitcnt vmcnt(0)
	s_delay_alu instid0(VALU_DEP_2) | instskip(SKIP_1) | instid1(VALU_DEP_3)
	v_add_co_u32 v8, vcc_lo, v8, v2
	v_mov_b32_e32 v2, v11
	v_add_co_ci_u32_e32 v9, vcc_lo, v9, v3, vcc_lo
	v_mov_b32_e32 v3, v12
	global_store_b64 v[8:9], v[11:12], off
	s_waitcnt_vscnt null, 0x0
	global_atomic_cmpswap_b64 v[2:3], v10, v[0:3], s[2:3] offset:24 glc
	s_waitcnt vmcnt(0)
	v_cmp_ne_u64_e32 vcc_lo, v[2:3], v[11:12]
	s_and_b32 exec_lo, exec_lo, vcc_lo
	s_cbranch_execz .LBB1_26
; %bb.24:
	s_mov_b32 s0, 0
.LBB1_25:                               ; =>This Inner Loop Header: Depth=1
	s_sleep 1
	global_store_b64 v[8:9], v[2:3], off
	s_waitcnt_vscnt null, 0x0
	global_atomic_cmpswap_b64 v[11:12], v10, v[0:3], s[2:3] offset:24 glc
	s_waitcnt vmcnt(0)
	v_cmp_eq_u64_e32 vcc_lo, v[11:12], v[2:3]
	v_dual_mov_b32 v2, v11 :: v_dual_mov_b32 v3, v12
	s_or_b32 s0, vcc_lo, s0
	s_delay_alu instid0(SALU_CYCLE_1)
	s_and_not1_b32 exec_lo, exec_lo, s0
	s_cbranch_execnz .LBB1_25
.LBB1_26:
	s_or_b32 exec_lo, exec_lo, s1
	v_mov_b32_e32 v1, s33
	s_mov_b32 s0, 0
.LBB1_27:                               ; =>This Inner Loop Header: Depth=1
	scratch_load_u8 v2, v1, off
	v_add_nc_u32_e32 v0, 1, v1
	s_delay_alu instid0(VALU_DEP_1) | instskip(SKIP_3) | instid1(SALU_CYCLE_1)
	v_mov_b32_e32 v1, v0
	s_waitcnt vmcnt(0)
	v_cmp_eq_u16_e32 vcc_lo, 0, v2
	s_or_b32 s0, vcc_lo, s0
	s_and_not1_b32 exec_lo, exec_lo, s0
	s_cbranch_execnz .LBB1_27
; %bb.28:
	s_or_b32 exec_lo, exec_lo, s0
	v_cmp_ne_u32_e64 s0, -1, s33
	s_delay_alu instid0(VALU_DEP_1)
	s_and_b32 vcc_lo, exec_lo, s0
	s_cbranch_vccz .LBB1_113
; %bb.29:
	v_subrev_nc_u32_e32 v28, s33, v0
	v_dual_mov_b32 v9, 0 :: v_dual_and_b32 v36, 2, v6
	v_dual_mov_b32 v1, v7 :: v_dual_and_b32 v0, -3, v6
	s_delay_alu instid0(VALU_DEP_3)
	v_ashrrev_i32_e32 v29, 31, v28
	v_dual_mov_b32 v37, s33 :: v_dual_mov_b32 v10, 2
	v_mov_b32_e32 v11, 1
	s_mov_b32 s11, 0
	s_mov_b32 s10, 0
	s_branch .LBB1_31
.LBB1_30:                               ;   in Loop: Header=BB1_31 Depth=1
	s_or_b32 exec_lo, exec_lo, s1
	v_sub_co_u32 v28, vcc_lo, v28, v30
	v_sub_co_ci_u32_e32 v29, vcc_lo, v29, v31, vcc_lo
	v_add_nc_u32_e32 v37, v37, v30
	s_delay_alu instid0(VALU_DEP_2) | instskip(SKIP_1) | instid1(SALU_CYCLE_1)
	v_cmp_eq_u64_e32 vcc_lo, 0, v[28:29]
	s_or_b32 s10, vcc_lo, s10
	s_and_not1_b32 exec_lo, exec_lo, s10
	s_cbranch_execz .LBB1_114
.LBB1_31:                               ; =>This Loop Header: Depth=1
                                        ;     Child Loop BB1_34 Depth 2
                                        ;     Child Loop BB1_42 Depth 2
	;; [unrolled: 1-line block ×11, first 2 shown]
	v_cmp_gt_u64_e32 vcc_lo, 56, v[28:29]
	s_mov_b32 s4, exec_lo
                                        ; implicit-def: $vgpr2_vgpr3
                                        ; implicit-def: $sgpr1
	v_dual_cndmask_b32 v31, 0, v29 :: v_dual_cndmask_b32 v30, 56, v28
	v_cmpx_gt_u64_e32 8, v[28:29]
	s_xor_b32 s4, exec_lo, s4
	s_cbranch_execz .LBB1_37
; %bb.32:                               ;   in Loop: Header=BB1_31 Depth=1
	s_waitcnt vmcnt(0)
	v_mov_b32_e32 v2, 0
	v_mov_b32_e32 v3, 0
	s_mov_b64 s[0:1], 0
	s_mov_b32 s5, exec_lo
	v_cmpx_ne_u64_e32 0, v[28:29]
	s_cbranch_execz .LBB1_36
; %bb.33:                               ;   in Loop: Header=BB1_31 Depth=1
	v_lshlrev_b64 v[12:13], 3, v[30:31]
	v_mov_b32_e32 v2, 0
	v_dual_mov_b32 v3, 0 :: v_dual_mov_b32 v8, v37
	s_mov_b32 s6, 0
.LBB1_34:                               ;   Parent Loop BB1_31 Depth=1
                                        ; =>  This Inner Loop Header: Depth=2
	scratch_load_u8 v13, v8, off
	v_mov_b32_e32 v14, s11
	v_add_nc_u32_e32 v8, 1, v8
	s_waitcnt vmcnt(0)
	v_and_b32_e32 v13, 0xffff, v13
	s_delay_alu instid0(VALU_DEP_1) | instskip(SKIP_3) | instid1(VALU_DEP_2)
	v_lshlrev_b64 v[13:14], s0, v[13:14]
	s_add_u32 s0, s0, 8
	s_addc_u32 s1, s1, 0
	v_cmp_eq_u32_e32 vcc_lo, s0, v12
	v_or_b32_e32 v3, v14, v3
	s_delay_alu instid0(VALU_DEP_3) | instskip(SKIP_1) | instid1(SALU_CYCLE_1)
	v_or_b32_e32 v2, v13, v2
	s_or_b32 s6, vcc_lo, s6
	s_and_not1_b32 exec_lo, exec_lo, s6
	s_cbranch_execnz .LBB1_34
; %bb.35:                               ;   in Loop: Header=BB1_31 Depth=1
	s_or_b32 exec_lo, exec_lo, s6
.LBB1_36:                               ;   in Loop: Header=BB1_31 Depth=1
	s_delay_alu instid0(SALU_CYCLE_1)
	s_or_b32 exec_lo, exec_lo, s5
	s_mov_b32 s1, 0
.LBB1_37:                               ;   in Loop: Header=BB1_31 Depth=1
	s_or_saveexec_b32 s0, s4
	v_mov_b32_e32 v14, s1
	v_mov_b32_e32 v8, v37
	s_xor_b32 exec_lo, exec_lo, s0
	s_cbranch_execz .LBB1_39
; %bb.38:                               ;   in Loop: Header=BB1_31 Depth=1
	scratch_load_b64 v[2:3], v37, off
	v_add_nc_u32_e32 v14, -8, v30
	s_waitcnt vmcnt(0)
	v_and_b32_e32 v8, 0xff, v3
	v_and_b32_e32 v12, 0xff00, v3
	;; [unrolled: 1-line block ×4, first 2 shown]
	v_or3_b32 v2, v2, 0, 0
	s_delay_alu instid0(VALU_DEP_4) | instskip(NEXT) | instid1(VALU_DEP_1)
	v_or_b32_e32 v8, v8, v12
	v_or3_b32 v3, v8, v13, v3
	v_add_nc_u32_e32 v8, 8, v37
.LBB1_39:                               ;   in Loop: Header=BB1_31 Depth=1
	s_or_b32 exec_lo, exec_lo, s0
                                        ; implicit-def: $vgpr12_vgpr13
                                        ; implicit-def: $sgpr1
	s_delay_alu instid0(SALU_CYCLE_1)
	s_mov_b32 s0, exec_lo
	v_cmpx_gt_u32_e32 8, v14
	s_xor_b32 s4, exec_lo, s0
	s_cbranch_execz .LBB1_45
; %bb.40:                               ;   in Loop: Header=BB1_31 Depth=1
	v_mov_b32_e32 v12, 0
	v_mov_b32_e32 v13, 0
	s_mov_b32 s5, exec_lo
	v_cmpx_ne_u32_e32 0, v14
	s_cbranch_execz .LBB1_44
; %bb.41:                               ;   in Loop: Header=BB1_31 Depth=1
	v_mov_b32_e32 v12, 0
	v_mov_b32_e32 v13, 0
	s_mov_b64 s[0:1], 0
	s_mov_b32 s6, 0
	s_mov_b32 s7, 0
	.p2align	6
.LBB1_42:                               ;   Parent Loop BB1_31 Depth=1
                                        ; =>  This Inner Loop Header: Depth=2
	s_delay_alu instid0(SALU_CYCLE_1) | instskip(SKIP_1) | instid1(SALU_CYCLE_1)
	v_dual_mov_b32 v16, s11 :: v_dual_add_nc_u32 v15, s7, v8
	s_add_i32 s7, s7, 1
	v_cmp_eq_u32_e32 vcc_lo, s7, v14
	scratch_load_u8 v15, v15, off
	s_waitcnt vmcnt(0)
	v_and_b32_e32 v15, 0xffff, v15
	s_delay_alu instid0(VALU_DEP_1) | instskip(SKIP_3) | instid1(VALU_DEP_1)
	v_lshlrev_b64 v[15:16], s0, v[15:16]
	s_add_u32 s0, s0, 8
	s_addc_u32 s1, s1, 0
	s_or_b32 s6, vcc_lo, s6
	v_or_b32_e32 v13, v16, v13
	s_delay_alu instid0(VALU_DEP_2)
	v_or_b32_e32 v12, v15, v12
	s_and_not1_b32 exec_lo, exec_lo, s6
	s_cbranch_execnz .LBB1_42
; %bb.43:                               ;   in Loop: Header=BB1_31 Depth=1
	s_or_b32 exec_lo, exec_lo, s6
.LBB1_44:                               ;   in Loop: Header=BB1_31 Depth=1
	s_delay_alu instid0(SALU_CYCLE_1)
	s_or_b32 exec_lo, exec_lo, s5
	s_mov_b32 s1, 0
                                        ; implicit-def: $vgpr14
.LBB1_45:                               ;   in Loop: Header=BB1_31 Depth=1
	s_or_saveexec_b32 s0, s4
	v_mov_b32_e32 v16, s1
	s_xor_b32 exec_lo, exec_lo, s0
	s_cbranch_execz .LBB1_47
; %bb.46:                               ;   in Loop: Header=BB1_31 Depth=1
	scratch_load_b64 v[12:13], v8, off
	v_add_nc_u32_e32 v8, 8, v8
	s_waitcnt vmcnt(0)
	v_and_b32_e32 v15, 0xff, v13
	v_and_b32_e32 v16, 0xff00, v13
	;; [unrolled: 1-line block ×4, first 2 shown]
	v_or3_b32 v12, v12, 0, 0
	s_delay_alu instid0(VALU_DEP_4) | instskip(SKIP_1) | instid1(VALU_DEP_2)
	v_or_b32_e32 v15, v15, v16
	v_add_nc_u32_e32 v16, -8, v14
	v_or3_b32 v13, v15, v17, v13
.LBB1_47:                               ;   in Loop: Header=BB1_31 Depth=1
	s_or_b32 exec_lo, exec_lo, s0
                                        ; implicit-def: $sgpr1
	s_delay_alu instid0(SALU_CYCLE_1) | instskip(NEXT) | instid1(VALU_DEP_1)
	s_mov_b32 s0, exec_lo
	v_cmpx_gt_u32_e32 8, v16
	s_xor_b32 s4, exec_lo, s0
	s_cbranch_execz .LBB1_53
; %bb.48:                               ;   in Loop: Header=BB1_31 Depth=1
	v_mov_b32_e32 v14, 0
	v_mov_b32_e32 v15, 0
	s_mov_b32 s5, exec_lo
	v_cmpx_ne_u32_e32 0, v16
	s_cbranch_execz .LBB1_52
; %bb.49:                               ;   in Loop: Header=BB1_31 Depth=1
	v_mov_b32_e32 v14, 0
	v_mov_b32_e32 v15, 0
	s_mov_b64 s[0:1], 0
	s_mov_b32 s6, 0
	s_mov_b32 s7, 0
	.p2align	6
.LBB1_50:                               ;   Parent Loop BB1_31 Depth=1
                                        ; =>  This Inner Loop Header: Depth=2
	s_delay_alu instid0(SALU_CYCLE_1) | instskip(SKIP_1) | instid1(SALU_CYCLE_1)
	v_dual_mov_b32 v18, s11 :: v_dual_add_nc_u32 v17, s7, v8
	s_add_i32 s7, s7, 1
	v_cmp_eq_u32_e32 vcc_lo, s7, v16
	scratch_load_u8 v17, v17, off
	s_waitcnt vmcnt(0)
	v_and_b32_e32 v17, 0xffff, v17
	s_delay_alu instid0(VALU_DEP_1) | instskip(SKIP_3) | instid1(VALU_DEP_1)
	v_lshlrev_b64 v[17:18], s0, v[17:18]
	s_add_u32 s0, s0, 8
	s_addc_u32 s1, s1, 0
	s_or_b32 s6, vcc_lo, s6
	v_or_b32_e32 v15, v18, v15
	s_delay_alu instid0(VALU_DEP_2)
	v_or_b32_e32 v14, v17, v14
	s_and_not1_b32 exec_lo, exec_lo, s6
	s_cbranch_execnz .LBB1_50
; %bb.51:                               ;   in Loop: Header=BB1_31 Depth=1
	s_or_b32 exec_lo, exec_lo, s6
.LBB1_52:                               ;   in Loop: Header=BB1_31 Depth=1
	s_delay_alu instid0(SALU_CYCLE_1)
	s_or_b32 exec_lo, exec_lo, s5
	s_mov_b32 s1, 0
                                        ; implicit-def: $vgpr16
.LBB1_53:                               ;   in Loop: Header=BB1_31 Depth=1
	s_or_saveexec_b32 s0, s4
	v_mov_b32_e32 v18, s1
	s_xor_b32 exec_lo, exec_lo, s0
	s_cbranch_execz .LBB1_55
; %bb.54:                               ;   in Loop: Header=BB1_31 Depth=1
	scratch_load_b64 v[14:15], v8, off
	v_add_nc_u32_e32 v8, 8, v8
	s_waitcnt vmcnt(0)
	v_and_b32_e32 v17, 0xff, v15
	v_and_b32_e32 v18, 0xff00, v15
	;; [unrolled: 1-line block ×4, first 2 shown]
	v_or3_b32 v14, v14, 0, 0
	s_delay_alu instid0(VALU_DEP_4) | instskip(SKIP_1) | instid1(VALU_DEP_2)
	v_or_b32_e32 v17, v17, v18
	v_add_nc_u32_e32 v18, -8, v16
	v_or3_b32 v15, v17, v19, v15
.LBB1_55:                               ;   in Loop: Header=BB1_31 Depth=1
	s_or_b32 exec_lo, exec_lo, s0
                                        ; implicit-def: $vgpr16_vgpr17
                                        ; implicit-def: $sgpr1
	s_delay_alu instid0(SALU_CYCLE_1) | instskip(NEXT) | instid1(VALU_DEP_1)
	s_mov_b32 s0, exec_lo
	v_cmpx_gt_u32_e32 8, v18
	s_xor_b32 s4, exec_lo, s0
	s_cbranch_execz .LBB1_61
; %bb.56:                               ;   in Loop: Header=BB1_31 Depth=1
	v_mov_b32_e32 v16, 0
	v_mov_b32_e32 v17, 0
	s_mov_b32 s5, exec_lo
	v_cmpx_ne_u32_e32 0, v18
	s_cbranch_execz .LBB1_60
; %bb.57:                               ;   in Loop: Header=BB1_31 Depth=1
	v_mov_b32_e32 v16, 0
	v_mov_b32_e32 v17, 0
	s_mov_b64 s[0:1], 0
	s_mov_b32 s6, 0
	s_mov_b32 s7, 0
	.p2align	6
.LBB1_58:                               ;   Parent Loop BB1_31 Depth=1
                                        ; =>  This Inner Loop Header: Depth=2
	s_delay_alu instid0(SALU_CYCLE_1) | instskip(SKIP_1) | instid1(SALU_CYCLE_1)
	v_dual_mov_b32 v20, s11 :: v_dual_add_nc_u32 v19, s7, v8
	s_add_i32 s7, s7, 1
	v_cmp_eq_u32_e32 vcc_lo, s7, v18
	scratch_load_u8 v19, v19, off
	s_waitcnt vmcnt(0)
	v_and_b32_e32 v19, 0xffff, v19
	s_delay_alu instid0(VALU_DEP_1) | instskip(SKIP_3) | instid1(VALU_DEP_1)
	v_lshlrev_b64 v[19:20], s0, v[19:20]
	s_add_u32 s0, s0, 8
	s_addc_u32 s1, s1, 0
	s_or_b32 s6, vcc_lo, s6
	v_or_b32_e32 v17, v20, v17
	s_delay_alu instid0(VALU_DEP_2)
	v_or_b32_e32 v16, v19, v16
	s_and_not1_b32 exec_lo, exec_lo, s6
	s_cbranch_execnz .LBB1_58
; %bb.59:                               ;   in Loop: Header=BB1_31 Depth=1
	s_or_b32 exec_lo, exec_lo, s6
.LBB1_60:                               ;   in Loop: Header=BB1_31 Depth=1
	s_delay_alu instid0(SALU_CYCLE_1)
	s_or_b32 exec_lo, exec_lo, s5
	s_mov_b32 s1, 0
                                        ; implicit-def: $vgpr18
.LBB1_61:                               ;   in Loop: Header=BB1_31 Depth=1
	s_or_saveexec_b32 s0, s4
	v_mov_b32_e32 v20, s1
	s_xor_b32 exec_lo, exec_lo, s0
	s_cbranch_execz .LBB1_63
; %bb.62:                               ;   in Loop: Header=BB1_31 Depth=1
	scratch_load_b64 v[16:17], v8, off
	v_add_nc_u32_e32 v8, 8, v8
	s_waitcnt vmcnt(0)
	v_and_b32_e32 v19, 0xff, v17
	v_and_b32_e32 v20, 0xff00, v17
	v_and_b32_e32 v21, 0xff0000, v17
	v_and_b32_e32 v17, 0xff000000, v17
	v_or3_b32 v16, v16, 0, 0
	s_delay_alu instid0(VALU_DEP_4) | instskip(SKIP_1) | instid1(VALU_DEP_2)
	v_or_b32_e32 v19, v19, v20
	v_add_nc_u32_e32 v20, -8, v18
	v_or3_b32 v17, v19, v21, v17
.LBB1_63:                               ;   in Loop: Header=BB1_31 Depth=1
	s_or_b32 exec_lo, exec_lo, s0
                                        ; implicit-def: $sgpr1
	s_delay_alu instid0(SALU_CYCLE_1) | instskip(NEXT) | instid1(VALU_DEP_1)
	s_mov_b32 s0, exec_lo
	v_cmpx_gt_u32_e32 8, v20
	s_xor_b32 s4, exec_lo, s0
	s_cbranch_execz .LBB1_69
; %bb.64:                               ;   in Loop: Header=BB1_31 Depth=1
	v_mov_b32_e32 v18, 0
	v_mov_b32_e32 v19, 0
	s_mov_b32 s5, exec_lo
	v_cmpx_ne_u32_e32 0, v20
	s_cbranch_execz .LBB1_68
; %bb.65:                               ;   in Loop: Header=BB1_31 Depth=1
	v_mov_b32_e32 v18, 0
	v_mov_b32_e32 v19, 0
	s_mov_b64 s[0:1], 0
	s_mov_b32 s6, 0
	s_mov_b32 s7, 0
	.p2align	6
.LBB1_66:                               ;   Parent Loop BB1_31 Depth=1
                                        ; =>  This Inner Loop Header: Depth=2
	s_delay_alu instid0(SALU_CYCLE_1) | instskip(SKIP_1) | instid1(SALU_CYCLE_1)
	v_dual_mov_b32 v22, s11 :: v_dual_add_nc_u32 v21, s7, v8
	s_add_i32 s7, s7, 1
	v_cmp_eq_u32_e32 vcc_lo, s7, v20
	scratch_load_u8 v21, v21, off
	s_waitcnt vmcnt(0)
	v_and_b32_e32 v21, 0xffff, v21
	s_delay_alu instid0(VALU_DEP_1) | instskip(SKIP_3) | instid1(VALU_DEP_1)
	v_lshlrev_b64 v[21:22], s0, v[21:22]
	s_add_u32 s0, s0, 8
	s_addc_u32 s1, s1, 0
	s_or_b32 s6, vcc_lo, s6
	v_or_b32_e32 v19, v22, v19
	s_delay_alu instid0(VALU_DEP_2)
	v_or_b32_e32 v18, v21, v18
	s_and_not1_b32 exec_lo, exec_lo, s6
	s_cbranch_execnz .LBB1_66
; %bb.67:                               ;   in Loop: Header=BB1_31 Depth=1
	s_or_b32 exec_lo, exec_lo, s6
.LBB1_68:                               ;   in Loop: Header=BB1_31 Depth=1
	s_delay_alu instid0(SALU_CYCLE_1)
	s_or_b32 exec_lo, exec_lo, s5
	s_mov_b32 s1, 0
                                        ; implicit-def: $vgpr20
.LBB1_69:                               ;   in Loop: Header=BB1_31 Depth=1
	s_or_saveexec_b32 s0, s4
	v_mov_b32_e32 v22, s1
	s_xor_b32 exec_lo, exec_lo, s0
	s_cbranch_execz .LBB1_71
; %bb.70:                               ;   in Loop: Header=BB1_31 Depth=1
	scratch_load_b64 v[18:19], v8, off
	v_add_nc_u32_e32 v8, 8, v8
	s_waitcnt vmcnt(0)
	v_and_b32_e32 v21, 0xff, v19
	v_and_b32_e32 v22, 0xff00, v19
	v_and_b32_e32 v23, 0xff0000, v19
	v_and_b32_e32 v19, 0xff000000, v19
	v_or3_b32 v18, v18, 0, 0
	s_delay_alu instid0(VALU_DEP_4) | instskip(SKIP_1) | instid1(VALU_DEP_2)
	v_or_b32_e32 v21, v21, v22
	v_add_nc_u32_e32 v22, -8, v20
	v_or3_b32 v19, v21, v23, v19
.LBB1_71:                               ;   in Loop: Header=BB1_31 Depth=1
	s_or_b32 exec_lo, exec_lo, s0
                                        ; implicit-def: $vgpr20_vgpr21
                                        ; implicit-def: $sgpr1
	s_delay_alu instid0(SALU_CYCLE_1) | instskip(NEXT) | instid1(VALU_DEP_1)
	s_mov_b32 s0, exec_lo
	v_cmpx_gt_u32_e32 8, v22
	s_xor_b32 s4, exec_lo, s0
	s_cbranch_execz .LBB1_77
; %bb.72:                               ;   in Loop: Header=BB1_31 Depth=1
	v_mov_b32_e32 v20, 0
	v_mov_b32_e32 v21, 0
	s_mov_b32 s5, exec_lo
	v_cmpx_ne_u32_e32 0, v22
	s_cbranch_execz .LBB1_76
; %bb.73:                               ;   in Loop: Header=BB1_31 Depth=1
	v_mov_b32_e32 v20, 0
	v_mov_b32_e32 v21, 0
	s_mov_b64 s[0:1], 0
	s_mov_b32 s6, 0
	s_mov_b32 s7, 0
	.p2align	6
.LBB1_74:                               ;   Parent Loop BB1_31 Depth=1
                                        ; =>  This Inner Loop Header: Depth=2
	s_delay_alu instid0(SALU_CYCLE_1) | instskip(SKIP_1) | instid1(SALU_CYCLE_1)
	v_dual_mov_b32 v24, s11 :: v_dual_add_nc_u32 v23, s7, v8
	s_add_i32 s7, s7, 1
	v_cmp_eq_u32_e32 vcc_lo, s7, v22
	scratch_load_u8 v23, v23, off
	s_waitcnt vmcnt(0)
	v_and_b32_e32 v23, 0xffff, v23
	s_delay_alu instid0(VALU_DEP_1) | instskip(SKIP_3) | instid1(VALU_DEP_1)
	v_lshlrev_b64 v[23:24], s0, v[23:24]
	s_add_u32 s0, s0, 8
	s_addc_u32 s1, s1, 0
	s_or_b32 s6, vcc_lo, s6
	v_or_b32_e32 v21, v24, v21
	s_delay_alu instid0(VALU_DEP_2)
	v_or_b32_e32 v20, v23, v20
	s_and_not1_b32 exec_lo, exec_lo, s6
	s_cbranch_execnz .LBB1_74
; %bb.75:                               ;   in Loop: Header=BB1_31 Depth=1
	s_or_b32 exec_lo, exec_lo, s6
.LBB1_76:                               ;   in Loop: Header=BB1_31 Depth=1
	s_delay_alu instid0(SALU_CYCLE_1)
	s_or_b32 exec_lo, exec_lo, s5
	s_mov_b32 s1, 0
                                        ; implicit-def: $vgpr22
.LBB1_77:                               ;   in Loop: Header=BB1_31 Depth=1
	s_or_saveexec_b32 s0, s4
	v_mov_b32_e32 v24, s1
	s_xor_b32 exec_lo, exec_lo, s0
	s_cbranch_execz .LBB1_79
; %bb.78:                               ;   in Loop: Header=BB1_31 Depth=1
	scratch_load_b64 v[20:21], v8, off
	v_add_nc_u32_e32 v8, 8, v8
	s_waitcnt vmcnt(0)
	v_and_b32_e32 v23, 0xff, v21
	v_and_b32_e32 v24, 0xff00, v21
	;; [unrolled: 1-line block ×4, first 2 shown]
	v_or3_b32 v20, v20, 0, 0
	s_delay_alu instid0(VALU_DEP_4) | instskip(SKIP_1) | instid1(VALU_DEP_2)
	v_or_b32_e32 v23, v23, v24
	v_add_nc_u32_e32 v24, -8, v22
	v_or3_b32 v21, v23, v25, v21
.LBB1_79:                               ;   in Loop: Header=BB1_31 Depth=1
	s_or_b32 exec_lo, exec_lo, s0
	s_delay_alu instid0(SALU_CYCLE_1) | instskip(NEXT) | instid1(VALU_DEP_1)
	s_mov_b32 s0, exec_lo
	v_cmpx_gt_u32_e32 8, v24
	s_xor_b32 s4, exec_lo, s0
	s_cbranch_execz .LBB1_85
; %bb.80:                               ;   in Loop: Header=BB1_31 Depth=1
	v_mov_b32_e32 v22, 0
	v_mov_b32_e32 v23, 0
	s_mov_b32 s5, exec_lo
	v_cmpx_ne_u32_e32 0, v24
	s_cbranch_execz .LBB1_84
; %bb.81:                               ;   in Loop: Header=BB1_31 Depth=1
	v_mov_b32_e32 v22, 0
	v_mov_b32_e32 v23, 0
	s_mov_b64 s[0:1], 0
	s_mov_b32 s6, 0
	.p2align	6
.LBB1_82:                               ;   Parent Loop BB1_31 Depth=1
                                        ; =>  This Inner Loop Header: Depth=2
	scratch_load_u8 v25, v8, off
	v_mov_b32_e32 v26, s11
	v_add_nc_u32_e32 v24, -1, v24
	v_add_nc_u32_e32 v8, 1, v8
	s_delay_alu instid0(VALU_DEP_2) | instskip(SKIP_2) | instid1(VALU_DEP_1)
	v_cmp_eq_u32_e32 vcc_lo, 0, v24
	s_waitcnt vmcnt(0)
	v_and_b32_e32 v25, 0xffff, v25
	v_lshlrev_b64 v[25:26], s0, v[25:26]
	s_add_u32 s0, s0, 8
	s_addc_u32 s1, s1, 0
	s_or_b32 s6, vcc_lo, s6
	s_delay_alu instid0(VALU_DEP_1) | instskip(NEXT) | instid1(VALU_DEP_2)
	v_or_b32_e32 v23, v26, v23
	v_or_b32_e32 v22, v25, v22
	s_and_not1_b32 exec_lo, exec_lo, s6
	s_cbranch_execnz .LBB1_82
; %bb.83:                               ;   in Loop: Header=BB1_31 Depth=1
	s_or_b32 exec_lo, exec_lo, s6
.LBB1_84:                               ;   in Loop: Header=BB1_31 Depth=1
	s_delay_alu instid0(SALU_CYCLE_1)
	s_or_b32 exec_lo, exec_lo, s5
                                        ; implicit-def: $vgpr8
.LBB1_85:                               ;   in Loop: Header=BB1_31 Depth=1
	s_and_not1_saveexec_b32 s0, s4
	s_cbranch_execz .LBB1_87
; %bb.86:                               ;   in Loop: Header=BB1_31 Depth=1
	scratch_load_b64 v[22:23], v8, off
	s_waitcnt vmcnt(0)
	v_and_b32_e32 v8, 0xff, v23
	v_and_b32_e32 v24, 0xff00, v23
	v_and_b32_e32 v25, 0xff0000, v23
	v_and_b32_e32 v23, 0xff000000, v23
	v_or3_b32 v22, v22, 0, 0
	s_delay_alu instid0(VALU_DEP_4) | instskip(NEXT) | instid1(VALU_DEP_1)
	v_or_b32_e32 v8, v8, v24
	v_or3_b32 v23, v8, v25, v23
.LBB1_87:                               ;   in Loop: Header=BB1_31 Depth=1
	s_or_b32 exec_lo, exec_lo, s0
	v_readfirstlane_b32 s0, v35
	v_mov_b32_e32 v32, 0
	v_mov_b32_e32 v33, 0
	s_delay_alu instid0(VALU_DEP_3) | instskip(NEXT) | instid1(VALU_DEP_1)
	v_cmp_eq_u32_e64 s0, s0, v35
	s_and_saveexec_b32 s1, s0
	s_cbranch_execz .LBB1_93
; %bb.88:                               ;   in Loop: Header=BB1_31 Depth=1
	global_load_b64 v[26:27], v9, s[2:3] offset:24 glc
	s_waitcnt vmcnt(0)
	buffer_gl1_inv
	buffer_gl0_inv
	s_clause 0x1
	global_load_b64 v[24:25], v9, s[2:3] offset:40
	global_load_b64 v[32:33], v9, s[2:3]
	s_mov_b32 s4, exec_lo
	s_waitcnt vmcnt(1)
	v_and_b32_e32 v8, v25, v27
	v_and_b32_e32 v24, v24, v26
	s_delay_alu instid0(VALU_DEP_2) | instskip(NEXT) | instid1(VALU_DEP_2)
	v_mul_lo_u32 v8, v8, 24
	v_mul_hi_u32 v25, v24, 24
	v_mul_lo_u32 v24, v24, 24
	s_delay_alu instid0(VALU_DEP_2) | instskip(SKIP_1) | instid1(VALU_DEP_2)
	v_add_nc_u32_e32 v8, v25, v8
	s_waitcnt vmcnt(0)
	v_add_co_u32 v24, vcc_lo, v32, v24
	s_delay_alu instid0(VALU_DEP_2)
	v_add_co_ci_u32_e32 v25, vcc_lo, v33, v8, vcc_lo
	global_load_b64 v[24:25], v[24:25], off glc
	s_waitcnt vmcnt(0)
	global_atomic_cmpswap_b64 v[32:33], v9, v[24:27], s[2:3] offset:24 glc
	s_waitcnt vmcnt(0)
	buffer_gl1_inv
	buffer_gl0_inv
	v_cmpx_ne_u64_e64 v[32:33], v[26:27]
	s_cbranch_execz .LBB1_92
; %bb.89:                               ;   in Loop: Header=BB1_31 Depth=1
	s_mov_b32 s5, 0
	.p2align	6
.LBB1_90:                               ;   Parent Loop BB1_31 Depth=1
                                        ; =>  This Inner Loop Header: Depth=2
	s_sleep 1
	s_clause 0x1
	global_load_b64 v[24:25], v9, s[2:3] offset:40
	global_load_b64 v[38:39], v9, s[2:3]
	v_dual_mov_b32 v26, v32 :: v_dual_mov_b32 v27, v33
	s_waitcnt vmcnt(1)
	s_delay_alu instid0(VALU_DEP_1) | instskip(SKIP_1) | instid1(VALU_DEP_1)
	v_and_b32_e32 v8, v24, v26
	s_waitcnt vmcnt(0)
	v_mad_u64_u32 v[32:33], null, v8, 24, v[38:39]
	v_and_b32_e32 v38, v25, v27
	s_delay_alu instid0(VALU_DEP_2) | instskip(NEXT) | instid1(VALU_DEP_1)
	v_mov_b32_e32 v8, v33
	v_mad_u64_u32 v[24:25], null, v38, 24, v[8:9]
	s_delay_alu instid0(VALU_DEP_1)
	v_mov_b32_e32 v33, v24
	global_load_b64 v[24:25], v[32:33], off glc
	s_waitcnt vmcnt(0)
	global_atomic_cmpswap_b64 v[32:33], v9, v[24:27], s[2:3] offset:24 glc
	s_waitcnt vmcnt(0)
	buffer_gl1_inv
	buffer_gl0_inv
	v_cmp_eq_u64_e32 vcc_lo, v[32:33], v[26:27]
	s_or_b32 s5, vcc_lo, s5
	s_delay_alu instid0(SALU_CYCLE_1)
	s_and_not1_b32 exec_lo, exec_lo, s5
	s_cbranch_execnz .LBB1_90
; %bb.91:                               ;   in Loop: Header=BB1_31 Depth=1
	s_or_b32 exec_lo, exec_lo, s5
.LBB1_92:                               ;   in Loop: Header=BB1_31 Depth=1
	s_delay_alu instid0(SALU_CYCLE_1)
	s_or_b32 exec_lo, exec_lo, s4
.LBB1_93:                               ;   in Loop: Header=BB1_31 Depth=1
	s_delay_alu instid0(SALU_CYCLE_1)
	s_or_b32 exec_lo, exec_lo, s1
	s_clause 0x1
	global_load_b64 v[38:39], v9, s[2:3] offset:40
	global_load_b128 v[24:27], v9, s[2:3]
	v_readfirstlane_b32 s4, v32
	v_readfirstlane_b32 s5, v33
	s_mov_b32 s1, exec_lo
	s_waitcnt vmcnt(1)
	v_readfirstlane_b32 s6, v38
	v_readfirstlane_b32 s7, v39
	s_delay_alu instid0(VALU_DEP_1) | instskip(NEXT) | instid1(SALU_CYCLE_1)
	s_and_b64 s[6:7], s[4:5], s[6:7]
	s_mul_i32 s12, s7, 24
	s_mul_hi_u32 s13, s6, 24
	s_mul_i32 s14, s6, 24
	s_add_i32 s13, s13, s12
	s_waitcnt vmcnt(0)
	v_add_co_u32 v32, vcc_lo, v24, s14
	v_add_co_ci_u32_e32 v33, vcc_lo, s13, v25, vcc_lo
	s_and_saveexec_b32 s12, s0
	s_cbranch_execz .LBB1_95
; %bb.94:                               ;   in Loop: Header=BB1_31 Depth=1
	v_mov_b32_e32 v8, s1
	global_store_b128 v[32:33], v[8:11], off offset:8
.LBB1_95:                               ;   in Loop: Header=BB1_31 Depth=1
	s_or_b32 exec_lo, exec_lo, s12
	v_cmp_lt_u64_e32 vcc_lo, 56, v[28:29]
	v_or_b32_e32 v8, 0, v1
	v_or_b32_e32 v38, v0, v36
	v_lshl_add_u32 v39, v30, 2, 28
	s_lshl_b64 s[6:7], s[6:7], 12
	s_delay_alu instid0(SALU_CYCLE_1) | instskip(NEXT) | instid1(VALU_DEP_1)
	v_add_co_u32 v26, s1, v26, s6
	v_add_co_ci_u32_e64 v27, s1, s7, v27, s1
	v_dual_cndmask_b32 v1, v8, v1 :: v_dual_cndmask_b32 v0, v38, v0
	v_and_b32_e32 v8, 0x1e0, v39
	s_delay_alu instid0(VALU_DEP_4) | instskip(NEXT) | instid1(VALU_DEP_4)
	v_readfirstlane_b32 s6, v26
	v_readfirstlane_b32 s7, v27
	s_delay_alu instid0(VALU_DEP_3)
	v_and_or_b32 v0, 0xffffff1f, v0, v8
	s_clause 0x3
	global_store_b128 v34, v[0:3], s[6:7]
	global_store_b128 v34, v[12:15], s[6:7] offset:16
	global_store_b128 v34, v[16:19], s[6:7] offset:32
	;; [unrolled: 1-line block ×3, first 2 shown]
	s_and_saveexec_b32 s1, s0
	s_cbranch_execz .LBB1_103
; %bb.96:                               ;   in Loop: Header=BB1_31 Depth=1
	s_clause 0x1
	global_load_b64 v[16:17], v9, s[2:3] offset:32 glc
	global_load_b64 v[0:1], v9, s[2:3] offset:40
	v_dual_mov_b32 v14, s4 :: v_dual_mov_b32 v15, s5
	s_waitcnt vmcnt(0)
	v_readfirstlane_b32 s6, v0
	v_readfirstlane_b32 s7, v1
	s_delay_alu instid0(VALU_DEP_1) | instskip(NEXT) | instid1(SALU_CYCLE_1)
	s_and_b64 s[6:7], s[6:7], s[4:5]
	s_mul_i32 s7, s7, 24
	s_mul_hi_u32 s12, s6, 24
	s_mul_i32 s6, s6, 24
	s_add_i32 s12, s12, s7
	v_add_co_u32 v12, vcc_lo, v24, s6
	v_add_co_ci_u32_e32 v13, vcc_lo, s12, v25, vcc_lo
	s_mov_b32 s6, exec_lo
	global_store_b64 v[12:13], v[16:17], off
	s_waitcnt_vscnt null, 0x0
	global_atomic_cmpswap_b64 v[2:3], v9, v[14:17], s[2:3] offset:32 glc
	s_waitcnt vmcnt(0)
	v_cmpx_ne_u64_e64 v[2:3], v[16:17]
	s_cbranch_execz .LBB1_99
; %bb.97:                               ;   in Loop: Header=BB1_31 Depth=1
	s_mov_b32 s7, 0
.LBB1_98:                               ;   Parent Loop BB1_31 Depth=1
                                        ; =>  This Inner Loop Header: Depth=2
	v_dual_mov_b32 v0, s4 :: v_dual_mov_b32 v1, s5
	s_sleep 1
	global_store_b64 v[12:13], v[2:3], off
	s_waitcnt_vscnt null, 0x0
	global_atomic_cmpswap_b64 v[0:1], v9, v[0:3], s[2:3] offset:32 glc
	s_waitcnt vmcnt(0)
	v_cmp_eq_u64_e32 vcc_lo, v[0:1], v[2:3]
	v_dual_mov_b32 v3, v1 :: v_dual_mov_b32 v2, v0
	s_or_b32 s7, vcc_lo, s7
	s_delay_alu instid0(SALU_CYCLE_1)
	s_and_not1_b32 exec_lo, exec_lo, s7
	s_cbranch_execnz .LBB1_98
.LBB1_99:                               ;   in Loop: Header=BB1_31 Depth=1
	s_or_b32 exec_lo, exec_lo, s6
	global_load_b64 v[0:1], v9, s[2:3] offset:16
	s_mov_b32 s7, exec_lo
	s_mov_b32 s6, exec_lo
	v_mbcnt_lo_u32_b32 v2, s7, 0
	s_delay_alu instid0(VALU_DEP_1)
	v_cmpx_eq_u32_e32 0, v2
	s_cbranch_execz .LBB1_101
; %bb.100:                              ;   in Loop: Header=BB1_31 Depth=1
	s_bcnt1_i32_b32 s7, s7
	s_delay_alu instid0(SALU_CYCLE_1)
	v_mov_b32_e32 v8, s7
	s_waitcnt vmcnt(0)
	global_atomic_add_u64 v[0:1], v[8:9], off offset:8
.LBB1_101:                              ;   in Loop: Header=BB1_31 Depth=1
	s_or_b32 exec_lo, exec_lo, s6
	s_waitcnt vmcnt(0)
	global_load_b64 v[2:3], v[0:1], off offset:16
	s_waitcnt vmcnt(0)
	v_cmp_eq_u64_e32 vcc_lo, 0, v[2:3]
	s_cbranch_vccnz .LBB1_103
; %bb.102:                              ;   in Loop: Header=BB1_31 Depth=1
	global_load_b32 v8, v[0:1], off offset:24
	s_waitcnt vmcnt(0)
	v_and_b32_e32 v0, 0xffffff, v8
	s_waitcnt_vscnt null, 0x0
	global_store_b64 v[2:3], v[8:9], off
	v_readfirstlane_b32 m0, v0
	s_sendmsg sendmsg(MSG_INTERRUPT)
.LBB1_103:                              ;   in Loop: Header=BB1_31 Depth=1
	s_or_b32 exec_lo, exec_lo, s1
	v_add_co_u32 v0, vcc_lo, v26, v34
	v_add_co_ci_u32_e32 v1, vcc_lo, 0, v27, vcc_lo
	s_branch .LBB1_107
	.p2align	6
.LBB1_104:                              ;   in Loop: Header=BB1_107 Depth=2
	s_or_b32 exec_lo, exec_lo, s1
	s_delay_alu instid0(VALU_DEP_1) | instskip(NEXT) | instid1(VALU_DEP_1)
	v_readfirstlane_b32 s1, v2
	s_cmp_eq_u32 s1, 0
	s_cbranch_scc1 .LBB1_106
; %bb.105:                              ;   in Loop: Header=BB1_107 Depth=2
	s_sleep 1
	s_cbranch_execnz .LBB1_107
	s_branch .LBB1_109
	.p2align	6
.LBB1_106:                              ;   in Loop: Header=BB1_31 Depth=1
	s_branch .LBB1_109
.LBB1_107:                              ;   Parent Loop BB1_31 Depth=1
                                        ; =>  This Inner Loop Header: Depth=2
	v_mov_b32_e32 v2, 1
	s_and_saveexec_b32 s1, s0
	s_cbranch_execz .LBB1_104
; %bb.108:                              ;   in Loop: Header=BB1_107 Depth=2
	global_load_b32 v2, v[32:33], off offset:20 glc
	s_waitcnt vmcnt(0)
	buffer_gl1_inv
	buffer_gl0_inv
	v_and_b32_e32 v2, 1, v2
	s_branch .LBB1_104
.LBB1_109:                              ;   in Loop: Header=BB1_31 Depth=1
	global_load_b128 v[0:3], v[0:1], off
	s_and_saveexec_b32 s1, s0
	s_cbranch_execz .LBB1_30
; %bb.110:                              ;   in Loop: Header=BB1_31 Depth=1
	s_clause 0x2
	global_load_b64 v[2:3], v9, s[2:3] offset:40
	global_load_b64 v[16:17], v9, s[2:3] offset:24 glc
	global_load_b64 v[14:15], v9, s[2:3]
	s_waitcnt vmcnt(2)
	v_add_co_u32 v8, vcc_lo, v2, 1
	v_add_co_ci_u32_e32 v18, vcc_lo, 0, v3, vcc_lo
	s_delay_alu instid0(VALU_DEP_2) | instskip(NEXT) | instid1(VALU_DEP_2)
	v_add_co_u32 v12, vcc_lo, v8, s4
	v_add_co_ci_u32_e32 v13, vcc_lo, s5, v18, vcc_lo
	s_delay_alu instid0(VALU_DEP_1) | instskip(SKIP_1) | instid1(VALU_DEP_1)
	v_cmp_eq_u64_e32 vcc_lo, 0, v[12:13]
	v_dual_cndmask_b32 v13, v13, v18 :: v_dual_cndmask_b32 v12, v12, v8
	v_and_b32_e32 v3, v13, v3
	s_delay_alu instid0(VALU_DEP_2) | instskip(NEXT) | instid1(VALU_DEP_1)
	v_and_b32_e32 v2, v12, v2
	v_mul_hi_u32 v8, v2, 24
	v_mul_lo_u32 v2, v2, 24
	s_waitcnt vmcnt(0)
	s_delay_alu instid0(VALU_DEP_1) | instskip(SKIP_2) | instid1(VALU_DEP_1)
	v_add_co_u32 v2, vcc_lo, v14, v2
	v_mov_b32_e32 v14, v16
	v_mul_lo_u32 v3, v3, 24
	v_add_nc_u32_e32 v3, v8, v3
	s_delay_alu instid0(VALU_DEP_1)
	v_add_co_ci_u32_e32 v3, vcc_lo, v15, v3, vcc_lo
	v_mov_b32_e32 v15, v17
	global_store_b64 v[2:3], v[16:17], off
	s_waitcnt_vscnt null, 0x0
	global_atomic_cmpswap_b64 v[14:15], v9, v[12:15], s[2:3] offset:24 glc
	s_waitcnt vmcnt(0)
	v_cmp_ne_u64_e32 vcc_lo, v[14:15], v[16:17]
	s_and_b32 exec_lo, exec_lo, vcc_lo
	s_cbranch_execz .LBB1_30
; %bb.111:                              ;   in Loop: Header=BB1_31 Depth=1
	s_mov_b32 s0, 0
.LBB1_112:                              ;   Parent Loop BB1_31 Depth=1
                                        ; =>  This Inner Loop Header: Depth=2
	s_sleep 1
	global_store_b64 v[2:3], v[14:15], off
	s_waitcnt_vscnt null, 0x0
	global_atomic_cmpswap_b64 v[16:17], v9, v[12:15], s[2:3] offset:24 glc
	s_waitcnt vmcnt(0)
	v_cmp_eq_u64_e32 vcc_lo, v[16:17], v[14:15]
	v_dual_mov_b32 v14, v16 :: v_dual_mov_b32 v15, v17
	s_or_b32 s0, vcc_lo, s0
	s_delay_alu instid0(SALU_CYCLE_1)
	s_and_not1_b32 exec_lo, exec_lo, s0
	s_cbranch_execnz .LBB1_112
	s_branch .LBB1_30
.LBB1_113:
                                        ; implicit-def: $vgpr0_vgpr1
	s_cbranch_execnz .LBB1_115
	s_branch .LBB1_142
.LBB1_114:
	s_or_b32 exec_lo, exec_lo, s10
	s_branch .LBB1_142
.LBB1_115:
	v_readfirstlane_b32 s0, v35
	v_mov_b32_e32 v9, 0
	v_mov_b32_e32 v10, 0
	s_delay_alu instid0(VALU_DEP_3) | instskip(NEXT) | instid1(VALU_DEP_1)
	v_cmp_eq_u32_e64 s0, s0, v35
	s_and_saveexec_b32 s1, s0
	s_cbranch_execz .LBB1_121
; %bb.116:
	s_waitcnt vmcnt(0)
	v_mov_b32_e32 v0, 0
	s_mov_b32 s4, exec_lo
	global_load_b64 v[11:12], v0, s[2:3] offset:24 glc
	s_waitcnt vmcnt(0)
	buffer_gl1_inv
	buffer_gl0_inv
	s_clause 0x1
	global_load_b64 v[1:2], v0, s[2:3] offset:40
	global_load_b64 v[8:9], v0, s[2:3]
	s_waitcnt vmcnt(1)
	v_and_b32_e32 v1, v1, v11
	v_and_b32_e32 v2, v2, v12
	s_delay_alu instid0(VALU_DEP_2) | instskip(NEXT) | instid1(VALU_DEP_2)
	v_mul_hi_u32 v3, v1, 24
	v_mul_lo_u32 v2, v2, 24
	v_mul_lo_u32 v1, v1, 24
	s_delay_alu instid0(VALU_DEP_2) | instskip(SKIP_1) | instid1(VALU_DEP_2)
	v_add_nc_u32_e32 v2, v3, v2
	s_waitcnt vmcnt(0)
	v_add_co_u32 v1, vcc_lo, v8, v1
	s_delay_alu instid0(VALU_DEP_2)
	v_add_co_ci_u32_e32 v2, vcc_lo, v9, v2, vcc_lo
	global_load_b64 v[9:10], v[1:2], off glc
	s_waitcnt vmcnt(0)
	global_atomic_cmpswap_b64 v[9:10], v0, v[9:12], s[2:3] offset:24 glc
	s_waitcnt vmcnt(0)
	buffer_gl1_inv
	buffer_gl0_inv
	v_cmpx_ne_u64_e64 v[9:10], v[11:12]
	s_cbranch_execz .LBB1_120
; %bb.117:
	s_mov_b32 s5, 0
	.p2align	6
.LBB1_118:                              ; =>This Inner Loop Header: Depth=1
	s_sleep 1
	s_clause 0x1
	global_load_b64 v[1:2], v0, s[2:3] offset:40
	global_load_b64 v[13:14], v0, s[2:3]
	v_dual_mov_b32 v12, v10 :: v_dual_mov_b32 v11, v9
	s_waitcnt vmcnt(1)
	s_delay_alu instid0(VALU_DEP_1) | instskip(SKIP_1) | instid1(VALU_DEP_1)
	v_and_b32_e32 v1, v1, v11
	s_waitcnt vmcnt(0)
	v_mad_u64_u32 v[8:9], null, v1, 24, v[13:14]
	s_delay_alu instid0(VALU_DEP_1) | instskip(NEXT) | instid1(VALU_DEP_1)
	v_dual_mov_b32 v1, v9 :: v_dual_and_b32 v10, v2, v12
	v_mad_u64_u32 v[2:3], null, v10, 24, v[1:2]
	s_delay_alu instid0(VALU_DEP_1)
	v_mov_b32_e32 v9, v2
	global_load_b64 v[9:10], v[8:9], off glc
	s_waitcnt vmcnt(0)
	global_atomic_cmpswap_b64 v[9:10], v0, v[9:12], s[2:3] offset:24 glc
	s_waitcnt vmcnt(0)
	buffer_gl1_inv
	buffer_gl0_inv
	v_cmp_eq_u64_e32 vcc_lo, v[9:10], v[11:12]
	s_or_b32 s5, vcc_lo, s5
	s_delay_alu instid0(SALU_CYCLE_1)
	s_and_not1_b32 exec_lo, exec_lo, s5
	s_cbranch_execnz .LBB1_118
; %bb.119:
	s_or_b32 exec_lo, exec_lo, s5
.LBB1_120:
	s_delay_alu instid0(SALU_CYCLE_1)
	s_or_b32 exec_lo, exec_lo, s4
.LBB1_121:
	s_delay_alu instid0(SALU_CYCLE_1)
	s_or_b32 exec_lo, exec_lo, s1
	v_mov_b32_e32 v8, 0
	v_readfirstlane_b32 s4, v9
	v_readfirstlane_b32 s5, v10
	s_mov_b32 s1, exec_lo
	s_clause 0x1
	global_load_b64 v[11:12], v8, s[2:3] offset:40
	global_load_b128 v[0:3], v8, s[2:3]
	s_waitcnt vmcnt(1)
	v_readfirstlane_b32 s6, v11
	v_readfirstlane_b32 s7, v12
	s_delay_alu instid0(VALU_DEP_1) | instskip(NEXT) | instid1(SALU_CYCLE_1)
	s_and_b64 s[6:7], s[4:5], s[6:7]
	s_mul_i32 s10, s7, 24
	s_mul_hi_u32 s11, s6, 24
	s_mul_i32 s12, s6, 24
	s_add_i32 s11, s11, s10
	s_waitcnt vmcnt(0)
	v_add_co_u32 v10, vcc_lo, v0, s12
	v_add_co_ci_u32_e32 v11, vcc_lo, s11, v1, vcc_lo
	s_and_saveexec_b32 s10, s0
	s_cbranch_execz .LBB1_123
; %bb.122:
	v_dual_mov_b32 v12, s1 :: v_dual_mov_b32 v13, v8
	v_dual_mov_b32 v14, 2 :: v_dual_mov_b32 v15, 1
	global_store_b128 v[10:11], v[12:15], off offset:8
.LBB1_123:
	s_or_b32 exec_lo, exec_lo, s10
	s_lshl_b64 s[6:7], s[6:7], 12
	s_mov_b32 s12, 0
	v_add_co_u32 v2, vcc_lo, v2, s6
	v_add_co_ci_u32_e32 v3, vcc_lo, s7, v3, vcc_lo
	s_mov_b32 s15, s12
	s_delay_alu instid0(VALU_DEP_2)
	v_add_co_u32 v12, vcc_lo, v2, v34
	s_mov_b32 s13, s12
	s_mov_b32 s14, s12
	v_and_or_b32 v6, 0xffffff1f, v6, 32
	v_mov_b32_e32 v9, v8
	v_readfirstlane_b32 s6, v2
	v_readfirstlane_b32 s7, v3
	v_dual_mov_b32 v17, s15 :: v_dual_mov_b32 v14, s12
	v_add_co_ci_u32_e32 v13, vcc_lo, 0, v3, vcc_lo
	v_dual_mov_b32 v16, s14 :: v_dual_mov_b32 v15, s13
	s_clause 0x3
	global_store_b128 v34, v[6:9], s[6:7]
	global_store_b128 v34, v[14:17], s[6:7] offset:16
	global_store_b128 v34, v[14:17], s[6:7] offset:32
	;; [unrolled: 1-line block ×3, first 2 shown]
	s_and_saveexec_b32 s1, s0
	s_cbranch_execz .LBB1_131
; %bb.124:
	v_dual_mov_b32 v8, 0 :: v_dual_mov_b32 v15, s5
	v_mov_b32_e32 v14, s4
	s_clause 0x1
	global_load_b64 v[16:17], v8, s[2:3] offset:32 glc
	global_load_b64 v[2:3], v8, s[2:3] offset:40
	s_waitcnt vmcnt(0)
	v_readfirstlane_b32 s6, v2
	v_readfirstlane_b32 s7, v3
	s_delay_alu instid0(VALU_DEP_1) | instskip(NEXT) | instid1(SALU_CYCLE_1)
	s_and_b64 s[6:7], s[6:7], s[4:5]
	s_mul_i32 s7, s7, 24
	s_mul_hi_u32 s10, s6, 24
	s_mul_i32 s6, s6, 24
	s_add_i32 s10, s10, s7
	v_add_co_u32 v6, vcc_lo, v0, s6
	v_add_co_ci_u32_e32 v7, vcc_lo, s10, v1, vcc_lo
	s_mov_b32 s6, exec_lo
	global_store_b64 v[6:7], v[16:17], off
	s_waitcnt_vscnt null, 0x0
	global_atomic_cmpswap_b64 v[2:3], v8, v[14:17], s[2:3] offset:32 glc
	s_waitcnt vmcnt(0)
	v_cmpx_ne_u64_e64 v[2:3], v[16:17]
	s_cbranch_execz .LBB1_127
; %bb.125:
	s_mov_b32 s7, 0
.LBB1_126:                              ; =>This Inner Loop Header: Depth=1
	v_dual_mov_b32 v0, s4 :: v_dual_mov_b32 v1, s5
	s_sleep 1
	global_store_b64 v[6:7], v[2:3], off
	s_waitcnt_vscnt null, 0x0
	global_atomic_cmpswap_b64 v[0:1], v8, v[0:3], s[2:3] offset:32 glc
	s_waitcnt vmcnt(0)
	v_cmp_eq_u64_e32 vcc_lo, v[0:1], v[2:3]
	v_dual_mov_b32 v3, v1 :: v_dual_mov_b32 v2, v0
	s_or_b32 s7, vcc_lo, s7
	s_delay_alu instid0(SALU_CYCLE_1)
	s_and_not1_b32 exec_lo, exec_lo, s7
	s_cbranch_execnz .LBB1_126
.LBB1_127:
	s_or_b32 exec_lo, exec_lo, s6
	v_mov_b32_e32 v3, 0
	s_mov_b32 s7, exec_lo
	s_mov_b32 s6, exec_lo
	v_mbcnt_lo_u32_b32 v2, s7, 0
	global_load_b64 v[0:1], v3, s[2:3] offset:16
	v_cmpx_eq_u32_e32 0, v2
	s_cbranch_execz .LBB1_129
; %bb.128:
	s_bcnt1_i32_b32 s7, s7
	s_delay_alu instid0(SALU_CYCLE_1)
	v_mov_b32_e32 v2, s7
	s_waitcnt vmcnt(0)
	global_atomic_add_u64 v[0:1], v[2:3], off offset:8
.LBB1_129:
	s_or_b32 exec_lo, exec_lo, s6
	s_waitcnt vmcnt(0)
	global_load_b64 v[2:3], v[0:1], off offset:16
	s_waitcnt vmcnt(0)
	v_cmp_eq_u64_e32 vcc_lo, 0, v[2:3]
	s_cbranch_vccnz .LBB1_131
; %bb.130:
	global_load_b32 v0, v[0:1], off offset:24
	s_waitcnt vmcnt(0)
	v_dual_mov_b32 v1, 0 :: v_dual_and_b32 v6, 0xffffff, v0
	s_waitcnt_vscnt null, 0x0
	global_store_b64 v[2:3], v[0:1], off
	v_readfirstlane_b32 m0, v6
	s_sendmsg sendmsg(MSG_INTERRUPT)
.LBB1_131:
	s_or_b32 exec_lo, exec_lo, s1
	s_branch .LBB1_135
	.p2align	6
.LBB1_132:                              ;   in Loop: Header=BB1_135 Depth=1
	s_or_b32 exec_lo, exec_lo, s1
	s_delay_alu instid0(VALU_DEP_1) | instskip(NEXT) | instid1(VALU_DEP_1)
	v_readfirstlane_b32 s1, v0
	s_cmp_eq_u32 s1, 0
	s_cbranch_scc1 .LBB1_134
; %bb.133:                              ;   in Loop: Header=BB1_135 Depth=1
	s_sleep 1
	s_cbranch_execnz .LBB1_135
	s_branch .LBB1_137
	.p2align	6
.LBB1_134:
	s_branch .LBB1_137
.LBB1_135:                              ; =>This Inner Loop Header: Depth=1
	v_mov_b32_e32 v0, 1
	s_and_saveexec_b32 s1, s0
	s_cbranch_execz .LBB1_132
; %bb.136:                              ;   in Loop: Header=BB1_135 Depth=1
	global_load_b32 v0, v[10:11], off offset:20 glc
	s_waitcnt vmcnt(0)
	buffer_gl1_inv
	buffer_gl0_inv
	v_and_b32_e32 v0, 1, v0
	s_branch .LBB1_132
.LBB1_137:
	global_load_b64 v[0:1], v[12:13], off
	s_and_saveexec_b32 s1, s0
	s_cbranch_execz .LBB1_141
; %bb.138:
	v_mov_b32_e32 v10, 0
	s_clause 0x2
	global_load_b64 v[2:3], v10, s[2:3] offset:40
	global_load_b64 v[11:12], v10, s[2:3] offset:24 glc
	global_load_b64 v[8:9], v10, s[2:3]
	s_waitcnt vmcnt(2)
	v_add_co_u32 v13, vcc_lo, v2, 1
	v_add_co_ci_u32_e32 v14, vcc_lo, 0, v3, vcc_lo
	s_delay_alu instid0(VALU_DEP_2) | instskip(NEXT) | instid1(VALU_DEP_2)
	v_add_co_u32 v6, vcc_lo, v13, s4
	v_add_co_ci_u32_e32 v7, vcc_lo, s5, v14, vcc_lo
	s_delay_alu instid0(VALU_DEP_1) | instskip(SKIP_1) | instid1(VALU_DEP_1)
	v_cmp_eq_u64_e32 vcc_lo, 0, v[6:7]
	v_dual_cndmask_b32 v7, v7, v14 :: v_dual_cndmask_b32 v6, v6, v13
	v_and_b32_e32 v3, v7, v3
	s_delay_alu instid0(VALU_DEP_2) | instskip(NEXT) | instid1(VALU_DEP_2)
	v_and_b32_e32 v2, v6, v2
	v_mul_lo_u32 v3, v3, 24
	s_delay_alu instid0(VALU_DEP_2) | instskip(SKIP_1) | instid1(VALU_DEP_2)
	v_mul_hi_u32 v13, v2, 24
	v_mul_lo_u32 v2, v2, 24
	v_add_nc_u32_e32 v3, v13, v3
	s_waitcnt vmcnt(0)
	s_delay_alu instid0(VALU_DEP_2) | instskip(SKIP_1) | instid1(VALU_DEP_3)
	v_add_co_u32 v2, vcc_lo, v8, v2
	v_mov_b32_e32 v8, v11
	v_add_co_ci_u32_e32 v3, vcc_lo, v9, v3, vcc_lo
	v_mov_b32_e32 v9, v12
	global_store_b64 v[2:3], v[11:12], off
	s_waitcnt_vscnt null, 0x0
	global_atomic_cmpswap_b64 v[8:9], v10, v[6:9], s[2:3] offset:24 glc
	s_waitcnt vmcnt(0)
	v_cmp_ne_u64_e32 vcc_lo, v[8:9], v[11:12]
	s_and_b32 exec_lo, exec_lo, vcc_lo
	s_cbranch_execz .LBB1_141
; %bb.139:
	s_mov_b32 s0, 0
.LBB1_140:                              ; =>This Inner Loop Header: Depth=1
	s_sleep 1
	global_store_b64 v[2:3], v[8:9], off
	s_waitcnt_vscnt null, 0x0
	global_atomic_cmpswap_b64 v[11:12], v10, v[6:9], s[2:3] offset:24 glc
	s_waitcnt vmcnt(0)
	v_cmp_eq_u64_e32 vcc_lo, v[11:12], v[8:9]
	v_dual_mov_b32 v8, v11 :: v_dual_mov_b32 v9, v12
	s_or_b32 s0, vcc_lo, s0
	s_delay_alu instid0(SALU_CYCLE_1)
	s_and_not1_b32 exec_lo, exec_lo, s0
	s_cbranch_execnz .LBB1_140
.LBB1_141:
	s_or_b32 exec_lo, exec_lo, s1
.LBB1_142:
	s_getpc_b64 s[4:5]
	s_add_u32 s4, s4, .str.2@rel32@lo+4
	s_addc_u32 s5, s5, .str.2@rel32@hi+12
	s_delay_alu instid0(SALU_CYCLE_1)
	s_cmp_lg_u64 s[4:5], 0
	s_cbranch_scc0 .LBB1_220
; %bb.143:
	s_getpc_b64 s[0:1]
	s_add_u32 s0, s0, .str.2@rel32@lo+80
	s_addc_u32 s1, s1, .str.2@rel32@hi+88
	s_waitcnt vmcnt(0)
	v_dual_mov_b32 v10, 0 :: v_dual_and_b32 v33, 2, v0
	v_dual_mov_b32 v7, v1 :: v_dual_and_b32 v6, -3, v0
	v_dual_mov_b32 v11, 2 :: v_dual_mov_b32 v12, 1
	s_sub_i32 s6, s0, s4
	s_delay_alu instid0(SALU_CYCLE_1)
	s_ashr_i32 s7, s6, 31
	s_branch .LBB1_145
.LBB1_144:                              ;   in Loop: Header=BB1_145 Depth=1
	s_or_b32 exec_lo, exec_lo, s1
	s_sub_u32 s6, s6, s10
	s_subb_u32 s7, s7, s11
	s_add_u32 s4, s4, s10
	s_addc_u32 s5, s5, s11
	s_cmp_lg_u64 s[6:7], 0
	s_cbranch_scc0 .LBB1_221
.LBB1_145:                              ; =>This Loop Header: Depth=1
                                        ;     Child Loop BB1_154 Depth 2
                                        ;     Child Loop BB1_150 Depth 2
                                        ;     Child Loop BB1_162 Depth 2
                                        ;     Child Loop BB1_169 Depth 2
                                        ;     Child Loop BB1_176 Depth 2
                                        ;     Child Loop BB1_183 Depth 2
                                        ;     Child Loop BB1_190 Depth 2
                                        ;     Child Loop BB1_197 Depth 2
                                        ;     Child Loop BB1_205 Depth 2
                                        ;     Child Loop BB1_214 Depth 2
                                        ;     Child Loop BB1_219 Depth 2
	v_cmp_lt_u64_e64 s0, s[6:7], 56
	v_cmp_gt_u64_e64 s1, s[6:7], 7
                                        ; implicit-def: $vgpr15_vgpr16
                                        ; implicit-def: $sgpr16
	s_delay_alu instid0(VALU_DEP_2) | instskip(SKIP_2) | instid1(VALU_DEP_1)
	s_and_b32 s0, s0, exec_lo
	s_cselect_b32 s11, s7, 0
	s_cselect_b32 s10, s6, 56
	s_and_b32 vcc_lo, exec_lo, s1
	s_mov_b32 s0, -1
	s_cbranch_vccz .LBB1_152
; %bb.146:                              ;   in Loop: Header=BB1_145 Depth=1
	s_and_not1_b32 vcc_lo, exec_lo, s0
	s_mov_b64 s[0:1], s[4:5]
	s_cbranch_vccz .LBB1_156
.LBB1_147:                              ;   in Loop: Header=BB1_145 Depth=1
	s_cmp_gt_u32 s16, 7
	s_cbranch_scc1 .LBB1_157
.LBB1_148:                              ;   in Loop: Header=BB1_145 Depth=1
	v_mov_b32_e32 v17, 0
	v_mov_b32_e32 v18, 0
	s_cmp_eq_u32 s16, 0
	s_cbranch_scc1 .LBB1_151
; %bb.149:                              ;   in Loop: Header=BB1_145 Depth=1
	s_mov_b64 s[12:13], 0
	s_mov_b64 s[14:15], 0
.LBB1_150:                              ;   Parent Loop BB1_145 Depth=1
                                        ; =>  This Inner Loop Header: Depth=2
	s_delay_alu instid0(SALU_CYCLE_1)
	s_add_u32 s18, s0, s14
	s_addc_u32 s19, s1, s15
	s_add_u32 s14, s14, 1
	global_load_u8 v2, v10, s[18:19]
	s_addc_u32 s15, s15, 0
	s_waitcnt vmcnt(0)
	v_and_b32_e32 v9, 0xffff, v2
	s_delay_alu instid0(VALU_DEP_1) | instskip(SKIP_3) | instid1(VALU_DEP_1)
	v_lshlrev_b64 v[2:3], s12, v[9:10]
	s_add_u32 s12, s12, 8
	s_addc_u32 s13, s13, 0
	s_cmp_lg_u32 s16, s14
	v_or_b32_e32 v17, v2, v17
	s_delay_alu instid0(VALU_DEP_2)
	v_or_b32_e32 v18, v3, v18
	s_cbranch_scc1 .LBB1_150
.LBB1_151:                              ;   in Loop: Header=BB1_145 Depth=1
	s_mov_b32 s17, 0
	s_cbranch_execz .LBB1_158
	s_branch .LBB1_159
.LBB1_152:                              ;   in Loop: Header=BB1_145 Depth=1
	v_mov_b32_e32 v15, 0
	v_mov_b32_e32 v16, 0
	s_cmp_eq_u64 s[6:7], 0
	s_mov_b64 s[0:1], 0
	s_cbranch_scc1 .LBB1_155
; %bb.153:                              ;   in Loop: Header=BB1_145 Depth=1
	v_mov_b32_e32 v15, 0
	v_mov_b32_e32 v16, 0
	s_lshl_b64 s[12:13], s[10:11], 3
	s_mov_b64 s[14:15], s[4:5]
.LBB1_154:                              ;   Parent Loop BB1_145 Depth=1
                                        ; =>  This Inner Loop Header: Depth=2
	global_load_u8 v2, v10, s[14:15]
	s_waitcnt vmcnt(0)
	v_and_b32_e32 v9, 0xffff, v2
	s_delay_alu instid0(VALU_DEP_1)
	v_lshlrev_b64 v[2:3], s0, v[9:10]
	s_add_u32 s0, s0, 8
	s_addc_u32 s1, s1, 0
	s_add_u32 s14, s14, 1
	s_addc_u32 s15, s15, 0
	s_cmp_lg_u32 s12, s0
	v_or_b32_e32 v15, v2, v15
	v_or_b32_e32 v16, v3, v16
	s_cbranch_scc1 .LBB1_154
.LBB1_155:                              ;   in Loop: Header=BB1_145 Depth=1
	s_mov_b32 s16, 0
	s_mov_b64 s[0:1], s[4:5]
	s_cbranch_execnz .LBB1_147
.LBB1_156:                              ;   in Loop: Header=BB1_145 Depth=1
	global_load_b64 v[15:16], v10, s[4:5]
	s_add_i32 s16, s10, -8
	s_add_u32 s0, s4, 8
	s_addc_u32 s1, s5, 0
	s_cmp_gt_u32 s16, 7
	s_cbranch_scc0 .LBB1_148
.LBB1_157:                              ;   in Loop: Header=BB1_145 Depth=1
                                        ; implicit-def: $vgpr17_vgpr18
                                        ; implicit-def: $sgpr17
.LBB1_158:                              ;   in Loop: Header=BB1_145 Depth=1
	global_load_b64 v[17:18], v10, s[0:1]
	s_add_i32 s17, s16, -8
	s_add_u32 s0, s0, 8
	s_addc_u32 s1, s1, 0
.LBB1_159:                              ;   in Loop: Header=BB1_145 Depth=1
	s_cmp_gt_u32 s17, 7
	s_cbranch_scc1 .LBB1_164
; %bb.160:                              ;   in Loop: Header=BB1_145 Depth=1
	v_mov_b32_e32 v19, 0
	v_mov_b32_e32 v20, 0
	s_cmp_eq_u32 s17, 0
	s_cbranch_scc1 .LBB1_163
; %bb.161:                              ;   in Loop: Header=BB1_145 Depth=1
	s_mov_b64 s[12:13], 0
	s_mov_b64 s[14:15], 0
.LBB1_162:                              ;   Parent Loop BB1_145 Depth=1
                                        ; =>  This Inner Loop Header: Depth=2
	s_delay_alu instid0(SALU_CYCLE_1)
	s_add_u32 s18, s0, s14
	s_addc_u32 s19, s1, s15
	s_add_u32 s14, s14, 1
	global_load_u8 v2, v10, s[18:19]
	s_addc_u32 s15, s15, 0
	s_waitcnt vmcnt(0)
	v_and_b32_e32 v9, 0xffff, v2
	s_delay_alu instid0(VALU_DEP_1) | instskip(SKIP_3) | instid1(VALU_DEP_1)
	v_lshlrev_b64 v[2:3], s12, v[9:10]
	s_add_u32 s12, s12, 8
	s_addc_u32 s13, s13, 0
	s_cmp_lg_u32 s17, s14
	v_or_b32_e32 v19, v2, v19
	s_delay_alu instid0(VALU_DEP_2)
	v_or_b32_e32 v20, v3, v20
	s_cbranch_scc1 .LBB1_162
.LBB1_163:                              ;   in Loop: Header=BB1_145 Depth=1
	s_mov_b32 s16, 0
	s_cbranch_execz .LBB1_165
	s_branch .LBB1_166
.LBB1_164:                              ;   in Loop: Header=BB1_145 Depth=1
                                        ; implicit-def: $sgpr16
.LBB1_165:                              ;   in Loop: Header=BB1_145 Depth=1
	global_load_b64 v[19:20], v10, s[0:1]
	s_add_i32 s16, s17, -8
	s_add_u32 s0, s0, 8
	s_addc_u32 s1, s1, 0
.LBB1_166:                              ;   in Loop: Header=BB1_145 Depth=1
	s_cmp_gt_u32 s16, 7
	s_cbranch_scc1 .LBB1_171
; %bb.167:                              ;   in Loop: Header=BB1_145 Depth=1
	v_mov_b32_e32 v21, 0
	v_mov_b32_e32 v22, 0
	s_cmp_eq_u32 s16, 0
	s_cbranch_scc1 .LBB1_170
; %bb.168:                              ;   in Loop: Header=BB1_145 Depth=1
	s_mov_b64 s[12:13], 0
	s_mov_b64 s[14:15], 0
.LBB1_169:                              ;   Parent Loop BB1_145 Depth=1
                                        ; =>  This Inner Loop Header: Depth=2
	s_delay_alu instid0(SALU_CYCLE_1)
	s_add_u32 s18, s0, s14
	s_addc_u32 s19, s1, s15
	s_add_u32 s14, s14, 1
	global_load_u8 v2, v10, s[18:19]
	s_addc_u32 s15, s15, 0
	s_waitcnt vmcnt(0)
	v_and_b32_e32 v9, 0xffff, v2
	s_delay_alu instid0(VALU_DEP_1) | instskip(SKIP_3) | instid1(VALU_DEP_1)
	v_lshlrev_b64 v[2:3], s12, v[9:10]
	s_add_u32 s12, s12, 8
	s_addc_u32 s13, s13, 0
	s_cmp_lg_u32 s16, s14
	v_or_b32_e32 v21, v2, v21
	s_delay_alu instid0(VALU_DEP_2)
	v_or_b32_e32 v22, v3, v22
	s_cbranch_scc1 .LBB1_169
.LBB1_170:                              ;   in Loop: Header=BB1_145 Depth=1
	s_mov_b32 s17, 0
	s_cbranch_execz .LBB1_172
	s_branch .LBB1_173
.LBB1_171:                              ;   in Loop: Header=BB1_145 Depth=1
                                        ; implicit-def: $vgpr21_vgpr22
                                        ; implicit-def: $sgpr17
.LBB1_172:                              ;   in Loop: Header=BB1_145 Depth=1
	global_load_b64 v[21:22], v10, s[0:1]
	s_add_i32 s17, s16, -8
	s_add_u32 s0, s0, 8
	s_addc_u32 s1, s1, 0
.LBB1_173:                              ;   in Loop: Header=BB1_145 Depth=1
	s_cmp_gt_u32 s17, 7
	s_cbranch_scc1 .LBB1_178
; %bb.174:                              ;   in Loop: Header=BB1_145 Depth=1
	v_mov_b32_e32 v23, 0
	v_mov_b32_e32 v24, 0
	s_cmp_eq_u32 s17, 0
	s_cbranch_scc1 .LBB1_177
; %bb.175:                              ;   in Loop: Header=BB1_145 Depth=1
	s_mov_b64 s[12:13], 0
	s_mov_b64 s[14:15], 0
.LBB1_176:                              ;   Parent Loop BB1_145 Depth=1
                                        ; =>  This Inner Loop Header: Depth=2
	s_delay_alu instid0(SALU_CYCLE_1)
	s_add_u32 s18, s0, s14
	s_addc_u32 s19, s1, s15
	s_add_u32 s14, s14, 1
	global_load_u8 v2, v10, s[18:19]
	s_addc_u32 s15, s15, 0
	s_waitcnt vmcnt(0)
	v_and_b32_e32 v9, 0xffff, v2
	s_delay_alu instid0(VALU_DEP_1) | instskip(SKIP_3) | instid1(VALU_DEP_1)
	v_lshlrev_b64 v[2:3], s12, v[9:10]
	s_add_u32 s12, s12, 8
	s_addc_u32 s13, s13, 0
	s_cmp_lg_u32 s17, s14
	v_or_b32_e32 v23, v2, v23
	s_delay_alu instid0(VALU_DEP_2)
	v_or_b32_e32 v24, v3, v24
	s_cbranch_scc1 .LBB1_176
.LBB1_177:                              ;   in Loop: Header=BB1_145 Depth=1
	s_mov_b32 s16, 0
	s_cbranch_execz .LBB1_179
	s_branch .LBB1_180
.LBB1_178:                              ;   in Loop: Header=BB1_145 Depth=1
                                        ; implicit-def: $sgpr16
.LBB1_179:                              ;   in Loop: Header=BB1_145 Depth=1
	global_load_b64 v[23:24], v10, s[0:1]
	s_add_i32 s16, s17, -8
	s_add_u32 s0, s0, 8
	s_addc_u32 s1, s1, 0
.LBB1_180:                              ;   in Loop: Header=BB1_145 Depth=1
	s_cmp_gt_u32 s16, 7
	s_cbranch_scc1 .LBB1_185
; %bb.181:                              ;   in Loop: Header=BB1_145 Depth=1
	v_mov_b32_e32 v25, 0
	v_mov_b32_e32 v26, 0
	s_cmp_eq_u32 s16, 0
	s_cbranch_scc1 .LBB1_184
; %bb.182:                              ;   in Loop: Header=BB1_145 Depth=1
	s_mov_b64 s[12:13], 0
	s_mov_b64 s[14:15], 0
.LBB1_183:                              ;   Parent Loop BB1_145 Depth=1
                                        ; =>  This Inner Loop Header: Depth=2
	s_delay_alu instid0(SALU_CYCLE_1)
	s_add_u32 s18, s0, s14
	s_addc_u32 s19, s1, s15
	s_add_u32 s14, s14, 1
	global_load_u8 v2, v10, s[18:19]
	s_addc_u32 s15, s15, 0
	s_waitcnt vmcnt(0)
	v_and_b32_e32 v9, 0xffff, v2
	s_delay_alu instid0(VALU_DEP_1) | instskip(SKIP_3) | instid1(VALU_DEP_1)
	v_lshlrev_b64 v[2:3], s12, v[9:10]
	s_add_u32 s12, s12, 8
	s_addc_u32 s13, s13, 0
	s_cmp_lg_u32 s16, s14
	v_or_b32_e32 v25, v2, v25
	s_delay_alu instid0(VALU_DEP_2)
	v_or_b32_e32 v26, v3, v26
	s_cbranch_scc1 .LBB1_183
.LBB1_184:                              ;   in Loop: Header=BB1_145 Depth=1
	s_mov_b32 s17, 0
	s_cbranch_execz .LBB1_186
	s_branch .LBB1_187
.LBB1_185:                              ;   in Loop: Header=BB1_145 Depth=1
                                        ; implicit-def: $vgpr25_vgpr26
                                        ; implicit-def: $sgpr17
.LBB1_186:                              ;   in Loop: Header=BB1_145 Depth=1
	global_load_b64 v[25:26], v10, s[0:1]
	s_add_i32 s17, s16, -8
	s_add_u32 s0, s0, 8
	s_addc_u32 s1, s1, 0
.LBB1_187:                              ;   in Loop: Header=BB1_145 Depth=1
	s_cmp_gt_u32 s17, 7
	s_cbranch_scc1 .LBB1_192
; %bb.188:                              ;   in Loop: Header=BB1_145 Depth=1
	v_mov_b32_e32 v27, 0
	v_mov_b32_e32 v28, 0
	s_cmp_eq_u32 s17, 0
	s_cbranch_scc1 .LBB1_191
; %bb.189:                              ;   in Loop: Header=BB1_145 Depth=1
	s_mov_b64 s[12:13], 0
	s_mov_b64 s[14:15], s[0:1]
.LBB1_190:                              ;   Parent Loop BB1_145 Depth=1
                                        ; =>  This Inner Loop Header: Depth=2
	global_load_u8 v2, v10, s[14:15]
	s_add_i32 s17, s17, -1
	s_waitcnt vmcnt(0)
	v_and_b32_e32 v9, 0xffff, v2
	s_delay_alu instid0(VALU_DEP_1)
	v_lshlrev_b64 v[2:3], s12, v[9:10]
	s_add_u32 s12, s12, 8
	s_addc_u32 s13, s13, 0
	s_add_u32 s14, s14, 1
	s_addc_u32 s15, s15, 0
	s_cmp_lg_u32 s17, 0
	v_or_b32_e32 v27, v2, v27
	v_or_b32_e32 v28, v3, v28
	s_cbranch_scc1 .LBB1_190
.LBB1_191:                              ;   in Loop: Header=BB1_145 Depth=1
	s_cbranch_execz .LBB1_193
	s_branch .LBB1_194
.LBB1_192:                              ;   in Loop: Header=BB1_145 Depth=1
.LBB1_193:                              ;   in Loop: Header=BB1_145 Depth=1
	global_load_b64 v[27:28], v10, s[0:1]
.LBB1_194:                              ;   in Loop: Header=BB1_145 Depth=1
	v_readfirstlane_b32 s0, v35
	v_mov_b32_e32 v2, 0
	v_mov_b32_e32 v3, 0
	s_delay_alu instid0(VALU_DEP_3) | instskip(NEXT) | instid1(VALU_DEP_1)
	v_cmp_eq_u32_e64 s0, s0, v35
	s_and_saveexec_b32 s1, s0
	s_cbranch_execz .LBB1_200
; %bb.195:                              ;   in Loop: Header=BB1_145 Depth=1
	global_load_b64 v[31:32], v10, s[2:3] offset:24 glc
	s_waitcnt vmcnt(0)
	buffer_gl1_inv
	buffer_gl0_inv
	s_clause 0x1
	global_load_b64 v[2:3], v10, s[2:3] offset:40
	global_load_b64 v[8:9], v10, s[2:3]
	s_mov_b32 s12, exec_lo
	s_waitcnt vmcnt(1)
	v_and_b32_e32 v3, v3, v32
	v_and_b32_e32 v2, v2, v31
	s_delay_alu instid0(VALU_DEP_2) | instskip(NEXT) | instid1(VALU_DEP_2)
	v_mul_lo_u32 v3, v3, 24
	v_mul_hi_u32 v13, v2, 24
	v_mul_lo_u32 v2, v2, 24
	s_delay_alu instid0(VALU_DEP_2) | instskip(SKIP_1) | instid1(VALU_DEP_2)
	v_add_nc_u32_e32 v3, v13, v3
	s_waitcnt vmcnt(0)
	v_add_co_u32 v2, vcc_lo, v8, v2
	s_delay_alu instid0(VALU_DEP_2)
	v_add_co_ci_u32_e32 v3, vcc_lo, v9, v3, vcc_lo
	global_load_b64 v[29:30], v[2:3], off glc
	s_waitcnt vmcnt(0)
	global_atomic_cmpswap_b64 v[2:3], v10, v[29:32], s[2:3] offset:24 glc
	s_waitcnt vmcnt(0)
	buffer_gl1_inv
	buffer_gl0_inv
	v_cmpx_ne_u64_e64 v[2:3], v[31:32]
	s_cbranch_execz .LBB1_199
; %bb.196:                              ;   in Loop: Header=BB1_145 Depth=1
	s_mov_b32 s13, 0
	.p2align	6
.LBB1_197:                              ;   Parent Loop BB1_145 Depth=1
                                        ; =>  This Inner Loop Header: Depth=2
	s_sleep 1
	s_clause 0x1
	global_load_b64 v[8:9], v10, s[2:3] offset:40
	global_load_b64 v[13:14], v10, s[2:3]
	v_dual_mov_b32 v32, v3 :: v_dual_mov_b32 v31, v2
	s_waitcnt vmcnt(1)
	s_delay_alu instid0(VALU_DEP_1) | instskip(SKIP_1) | instid1(VALU_DEP_1)
	v_and_b32_e32 v8, v8, v31
	s_waitcnt vmcnt(0)
	v_mad_u64_u32 v[2:3], null, v8, 24, v[13:14]
	v_and_b32_e32 v13, v9, v32
	s_delay_alu instid0(VALU_DEP_1) | instskip(NEXT) | instid1(VALU_DEP_1)
	v_mad_u64_u32 v[8:9], null, v13, 24, v[3:4]
	v_mov_b32_e32 v3, v8
	global_load_b64 v[29:30], v[2:3], off glc
	s_waitcnt vmcnt(0)
	global_atomic_cmpswap_b64 v[2:3], v10, v[29:32], s[2:3] offset:24 glc
	s_waitcnt vmcnt(0)
	buffer_gl1_inv
	buffer_gl0_inv
	v_cmp_eq_u64_e32 vcc_lo, v[2:3], v[31:32]
	s_or_b32 s13, vcc_lo, s13
	s_delay_alu instid0(SALU_CYCLE_1)
	s_and_not1_b32 exec_lo, exec_lo, s13
	s_cbranch_execnz .LBB1_197
; %bb.198:                              ;   in Loop: Header=BB1_145 Depth=1
	s_or_b32 exec_lo, exec_lo, s13
.LBB1_199:                              ;   in Loop: Header=BB1_145 Depth=1
	s_delay_alu instid0(SALU_CYCLE_1)
	s_or_b32 exec_lo, exec_lo, s12
.LBB1_200:                              ;   in Loop: Header=BB1_145 Depth=1
	s_delay_alu instid0(SALU_CYCLE_1)
	s_or_b32 exec_lo, exec_lo, s1
	s_clause 0x1
	global_load_b64 v[8:9], v10, s[2:3] offset:40
	global_load_b128 v[29:32], v10, s[2:3]
	v_readfirstlane_b32 s12, v2
	v_readfirstlane_b32 s13, v3
	s_mov_b32 s1, exec_lo
	s_waitcnt vmcnt(1)
	v_readfirstlane_b32 s14, v8
	v_readfirstlane_b32 s15, v9
	s_delay_alu instid0(VALU_DEP_1) | instskip(NEXT) | instid1(SALU_CYCLE_1)
	s_and_b64 s[14:15], s[12:13], s[14:15]
	s_mul_i32 s16, s15, 24
	s_mul_hi_u32 s17, s14, 24
	s_mul_i32 s18, s14, 24
	s_add_i32 s17, s17, s16
	s_waitcnt vmcnt(0)
	v_add_co_u32 v2, vcc_lo, v29, s18
	v_add_co_ci_u32_e32 v3, vcc_lo, s17, v30, vcc_lo
	s_and_saveexec_b32 s16, s0
	s_cbranch_execz .LBB1_202
; %bb.201:                              ;   in Loop: Header=BB1_145 Depth=1
	v_mov_b32_e32 v9, s1
	global_store_b128 v[2:3], v[9:12], off offset:8
.LBB1_202:                              ;   in Loop: Header=BB1_145 Depth=1
	s_or_b32 exec_lo, exec_lo, s16
	s_lshl_b64 s[14:15], s[14:15], 12
	v_cmp_gt_u64_e64 vcc_lo, s[6:7], 56
	v_or_b32_e32 v9, v6, v33
	v_add_co_u32 v31, s1, v31, s14
	s_delay_alu instid0(VALU_DEP_1)
	v_add_co_ci_u32_e64 v32, s1, s15, v32, s1
	s_lshl_b32 s1, s10, 2
	v_or_b32_e32 v8, 0, v7
	v_cndmask_b32_e32 v6, v9, v6, vcc_lo
	s_add_i32 s1, s1, 28
	v_readfirstlane_b32 s14, v31
	s_and_b32 s1, s1, 0x1e0
	v_cndmask_b32_e32 v14, v8, v7, vcc_lo
	v_readfirstlane_b32 s15, v32
	v_and_or_b32 v13, 0xffffff1f, v6, s1
	s_clause 0x3
	global_store_b128 v34, v[13:16], s[14:15]
	global_store_b128 v34, v[17:20], s[14:15] offset:16
	global_store_b128 v34, v[21:24], s[14:15] offset:32
	;; [unrolled: 1-line block ×3, first 2 shown]
	s_and_saveexec_b32 s1, s0
	s_cbranch_execz .LBB1_210
; %bb.203:                              ;   in Loop: Header=BB1_145 Depth=1
	s_clause 0x1
	global_load_b64 v[17:18], v10, s[2:3] offset:32 glc
	global_load_b64 v[6:7], v10, s[2:3] offset:40
	v_dual_mov_b32 v15, s12 :: v_dual_mov_b32 v16, s13
	s_waitcnt vmcnt(0)
	v_readfirstlane_b32 s14, v6
	v_readfirstlane_b32 s15, v7
	s_delay_alu instid0(VALU_DEP_1) | instskip(NEXT) | instid1(SALU_CYCLE_1)
	s_and_b64 s[14:15], s[14:15], s[12:13]
	s_mul_i32 s15, s15, 24
	s_mul_hi_u32 s16, s14, 24
	s_mul_i32 s14, s14, 24
	s_add_i32 s16, s16, s15
	v_add_co_u32 v13, vcc_lo, v29, s14
	v_add_co_ci_u32_e32 v14, vcc_lo, s16, v30, vcc_lo
	s_mov_b32 s14, exec_lo
	global_store_b64 v[13:14], v[17:18], off
	s_waitcnt_vscnt null, 0x0
	global_atomic_cmpswap_b64 v[8:9], v10, v[15:18], s[2:3] offset:32 glc
	s_waitcnt vmcnt(0)
	v_cmpx_ne_u64_e64 v[8:9], v[17:18]
	s_cbranch_execz .LBB1_206
; %bb.204:                              ;   in Loop: Header=BB1_145 Depth=1
	s_mov_b32 s15, 0
.LBB1_205:                              ;   Parent Loop BB1_145 Depth=1
                                        ; =>  This Inner Loop Header: Depth=2
	v_dual_mov_b32 v6, s12 :: v_dual_mov_b32 v7, s13
	s_sleep 1
	global_store_b64 v[13:14], v[8:9], off
	s_waitcnt_vscnt null, 0x0
	global_atomic_cmpswap_b64 v[6:7], v10, v[6:9], s[2:3] offset:32 glc
	s_waitcnt vmcnt(0)
	v_cmp_eq_u64_e32 vcc_lo, v[6:7], v[8:9]
	v_dual_mov_b32 v9, v7 :: v_dual_mov_b32 v8, v6
	s_or_b32 s15, vcc_lo, s15
	s_delay_alu instid0(SALU_CYCLE_1)
	s_and_not1_b32 exec_lo, exec_lo, s15
	s_cbranch_execnz .LBB1_205
.LBB1_206:                              ;   in Loop: Header=BB1_145 Depth=1
	s_or_b32 exec_lo, exec_lo, s14
	global_load_b64 v[6:7], v10, s[2:3] offset:16
	s_mov_b32 s15, exec_lo
	s_mov_b32 s14, exec_lo
	v_mbcnt_lo_u32_b32 v8, s15, 0
	s_delay_alu instid0(VALU_DEP_1)
	v_cmpx_eq_u32_e32 0, v8
	s_cbranch_execz .LBB1_208
; %bb.207:                              ;   in Loop: Header=BB1_145 Depth=1
	s_bcnt1_i32_b32 s15, s15
	s_delay_alu instid0(SALU_CYCLE_1)
	v_mov_b32_e32 v9, s15
	s_waitcnt vmcnt(0)
	global_atomic_add_u64 v[6:7], v[9:10], off offset:8
.LBB1_208:                              ;   in Loop: Header=BB1_145 Depth=1
	s_or_b32 exec_lo, exec_lo, s14
	s_waitcnt vmcnt(0)
	global_load_b64 v[13:14], v[6:7], off offset:16
	s_waitcnt vmcnt(0)
	v_cmp_eq_u64_e32 vcc_lo, 0, v[13:14]
	s_cbranch_vccnz .LBB1_210
; %bb.209:                              ;   in Loop: Header=BB1_145 Depth=1
	global_load_b32 v9, v[6:7], off offset:24
	s_waitcnt vmcnt(0)
	v_and_b32_e32 v6, 0xffffff, v9
	s_waitcnt_vscnt null, 0x0
	global_store_b64 v[13:14], v[9:10], off
	v_readfirstlane_b32 m0, v6
	s_sendmsg sendmsg(MSG_INTERRUPT)
.LBB1_210:                              ;   in Loop: Header=BB1_145 Depth=1
	s_or_b32 exec_lo, exec_lo, s1
	v_add_co_u32 v6, vcc_lo, v31, v34
	v_add_co_ci_u32_e32 v7, vcc_lo, 0, v32, vcc_lo
	s_branch .LBB1_214
	.p2align	6
.LBB1_211:                              ;   in Loop: Header=BB1_214 Depth=2
	s_or_b32 exec_lo, exec_lo, s1
	s_delay_alu instid0(VALU_DEP_1) | instskip(NEXT) | instid1(VALU_DEP_1)
	v_readfirstlane_b32 s1, v8
	s_cmp_eq_u32 s1, 0
	s_cbranch_scc1 .LBB1_213
; %bb.212:                              ;   in Loop: Header=BB1_214 Depth=2
	s_sleep 1
	s_cbranch_execnz .LBB1_214
	s_branch .LBB1_216
	.p2align	6
.LBB1_213:                              ;   in Loop: Header=BB1_145 Depth=1
	s_branch .LBB1_216
.LBB1_214:                              ;   Parent Loop BB1_145 Depth=1
                                        ; =>  This Inner Loop Header: Depth=2
	v_mov_b32_e32 v8, 1
	s_and_saveexec_b32 s1, s0
	s_cbranch_execz .LBB1_211
; %bb.215:                              ;   in Loop: Header=BB1_214 Depth=2
	global_load_b32 v8, v[2:3], off offset:20 glc
	s_waitcnt vmcnt(0)
	buffer_gl1_inv
	buffer_gl0_inv
	v_and_b32_e32 v8, 1, v8
	s_branch .LBB1_211
.LBB1_216:                              ;   in Loop: Header=BB1_145 Depth=1
	global_load_b128 v[6:9], v[6:7], off
	s_and_saveexec_b32 s1, s0
	s_cbranch_execz .LBB1_144
; %bb.217:                              ;   in Loop: Header=BB1_145 Depth=1
	s_clause 0x2
	global_load_b64 v[2:3], v10, s[2:3] offset:40
	global_load_b64 v[8:9], v10, s[2:3] offset:24 glc
	global_load_b64 v[15:16], v10, s[2:3]
	s_waitcnt vmcnt(2)
	v_add_co_u32 v17, vcc_lo, v2, 1
	v_add_co_ci_u32_e32 v18, vcc_lo, 0, v3, vcc_lo
	s_delay_alu instid0(VALU_DEP_2) | instskip(NEXT) | instid1(VALU_DEP_2)
	v_add_co_u32 v13, vcc_lo, v17, s12
	v_add_co_ci_u32_e32 v14, vcc_lo, s13, v18, vcc_lo
	s_delay_alu instid0(VALU_DEP_1) | instskip(SKIP_1) | instid1(VALU_DEP_1)
	v_cmp_eq_u64_e32 vcc_lo, 0, v[13:14]
	v_dual_cndmask_b32 v14, v14, v18 :: v_dual_cndmask_b32 v13, v13, v17
	v_and_b32_e32 v3, v14, v3
	s_delay_alu instid0(VALU_DEP_2) | instskip(NEXT) | instid1(VALU_DEP_2)
	v_and_b32_e32 v2, v13, v2
	v_mul_lo_u32 v3, v3, 24
	s_delay_alu instid0(VALU_DEP_2) | instskip(SKIP_1) | instid1(VALU_DEP_2)
	v_mul_hi_u32 v17, v2, 24
	v_mul_lo_u32 v2, v2, 24
	v_add_nc_u32_e32 v3, v17, v3
	s_waitcnt vmcnt(0)
	s_delay_alu instid0(VALU_DEP_2) | instskip(SKIP_1) | instid1(VALU_DEP_3)
	v_add_co_u32 v2, vcc_lo, v15, v2
	v_mov_b32_e32 v15, v8
	v_add_co_ci_u32_e32 v3, vcc_lo, v16, v3, vcc_lo
	v_mov_b32_e32 v16, v9
	global_store_b64 v[2:3], v[8:9], off
	s_waitcnt_vscnt null, 0x0
	global_atomic_cmpswap_b64 v[15:16], v10, v[13:16], s[2:3] offset:24 glc
	s_waitcnt vmcnt(0)
	v_cmp_ne_u64_e32 vcc_lo, v[15:16], v[8:9]
	s_and_b32 exec_lo, exec_lo, vcc_lo
	s_cbranch_execz .LBB1_144
; %bb.218:                              ;   in Loop: Header=BB1_145 Depth=1
	s_mov_b32 s0, 0
.LBB1_219:                              ;   Parent Loop BB1_145 Depth=1
                                        ; =>  This Inner Loop Header: Depth=2
	s_sleep 1
	global_store_b64 v[2:3], v[15:16], off
	s_waitcnt_vscnt null, 0x0
	global_atomic_cmpswap_b64 v[8:9], v10, v[13:16], s[2:3] offset:24 glc
	s_waitcnt vmcnt(0)
	v_cmp_eq_u64_e32 vcc_lo, v[8:9], v[15:16]
	v_dual_mov_b32 v16, v9 :: v_dual_mov_b32 v15, v8
	s_or_b32 s0, vcc_lo, s0
	s_delay_alu instid0(SALU_CYCLE_1)
	s_and_not1_b32 exec_lo, exec_lo, s0
	s_cbranch_execnz .LBB1_219
	s_branch .LBB1_144
.LBB1_220:
                                        ; implicit-def: $vgpr6_vgpr7
	s_cbranch_execnz .LBB1_222
	s_branch .LBB1_249
.LBB1_221:
	s_branch .LBB1_249
.LBB1_222:
	v_readfirstlane_b32 s0, v35
	v_mov_b32_e32 v10, 0
	v_mov_b32_e32 v11, 0
	s_delay_alu instid0(VALU_DEP_3) | instskip(NEXT) | instid1(VALU_DEP_1)
	v_cmp_eq_u32_e64 s0, s0, v35
	s_and_saveexec_b32 s1, s0
	s_cbranch_execz .LBB1_228
; %bb.223:
	s_waitcnt vmcnt(0)
	v_mov_b32_e32 v2, 0
	s_mov_b32 s4, exec_lo
	global_load_b64 v[8:9], v2, s[2:3] offset:24 glc
	s_waitcnt vmcnt(0)
	buffer_gl1_inv
	buffer_gl0_inv
	s_clause 0x1
	global_load_b64 v[6:7], v2, s[2:3] offset:40
	global_load_b64 v[10:11], v2, s[2:3]
	s_waitcnt vmcnt(1)
	v_and_b32_e32 v3, v7, v9
	v_and_b32_e32 v6, v6, v8
	s_delay_alu instid0(VALU_DEP_2) | instskip(NEXT) | instid1(VALU_DEP_2)
	v_mul_lo_u32 v3, v3, 24
	v_mul_hi_u32 v7, v6, 24
	v_mul_lo_u32 v6, v6, 24
	s_delay_alu instid0(VALU_DEP_2) | instskip(SKIP_1) | instid1(VALU_DEP_2)
	v_add_nc_u32_e32 v3, v7, v3
	s_waitcnt vmcnt(0)
	v_add_co_u32 v6, vcc_lo, v10, v6
	s_delay_alu instid0(VALU_DEP_2)
	v_add_co_ci_u32_e32 v7, vcc_lo, v11, v3, vcc_lo
	global_load_b64 v[6:7], v[6:7], off glc
	s_waitcnt vmcnt(0)
	global_atomic_cmpswap_b64 v[10:11], v2, v[6:9], s[2:3] offset:24 glc
	s_waitcnt vmcnt(0)
	buffer_gl1_inv
	buffer_gl0_inv
	v_cmpx_ne_u64_e64 v[10:11], v[8:9]
	s_cbranch_execz .LBB1_227
; %bb.224:
	s_mov_b32 s5, 0
	.p2align	6
.LBB1_225:                              ; =>This Inner Loop Header: Depth=1
	s_sleep 1
	s_clause 0x1
	global_load_b64 v[6:7], v2, s[2:3] offset:40
	global_load_b64 v[12:13], v2, s[2:3]
	v_dual_mov_b32 v8, v10 :: v_dual_mov_b32 v9, v11
	s_waitcnt vmcnt(1)
	s_delay_alu instid0(VALU_DEP_1) | instskip(SKIP_1) | instid1(VALU_DEP_1)
	v_and_b32_e32 v3, v6, v8
	s_waitcnt vmcnt(0)
	v_mad_u64_u32 v[10:11], null, v3, 24, v[12:13]
	v_and_b32_e32 v12, v7, v9
	s_delay_alu instid0(VALU_DEP_2) | instskip(NEXT) | instid1(VALU_DEP_1)
	v_mov_b32_e32 v3, v11
	v_mad_u64_u32 v[6:7], null, v12, 24, v[3:4]
	s_delay_alu instid0(VALU_DEP_1)
	v_mov_b32_e32 v11, v6
	global_load_b64 v[6:7], v[10:11], off glc
	s_waitcnt vmcnt(0)
	global_atomic_cmpswap_b64 v[10:11], v2, v[6:9], s[2:3] offset:24 glc
	s_waitcnt vmcnt(0)
	buffer_gl1_inv
	buffer_gl0_inv
	v_cmp_eq_u64_e32 vcc_lo, v[10:11], v[8:9]
	s_or_b32 s5, vcc_lo, s5
	s_delay_alu instid0(SALU_CYCLE_1)
	s_and_not1_b32 exec_lo, exec_lo, s5
	s_cbranch_execnz .LBB1_225
; %bb.226:
	s_or_b32 exec_lo, exec_lo, s5
.LBB1_227:
	s_delay_alu instid0(SALU_CYCLE_1)
	s_or_b32 exec_lo, exec_lo, s4
.LBB1_228:
	s_delay_alu instid0(SALU_CYCLE_1)
	s_or_b32 exec_lo, exec_lo, s1
	s_waitcnt vmcnt(0)
	v_mov_b32_e32 v2, 0
	v_readfirstlane_b32 s4, v10
	v_readfirstlane_b32 s5, v11
	s_mov_b32 s1, exec_lo
	s_clause 0x1
	global_load_b64 v[12:13], v2, s[2:3] offset:40
	global_load_b128 v[6:9], v2, s[2:3]
	s_waitcnt vmcnt(1)
	v_readfirstlane_b32 s6, v12
	v_readfirstlane_b32 s7, v13
	s_delay_alu instid0(VALU_DEP_1) | instskip(NEXT) | instid1(SALU_CYCLE_1)
	s_and_b64 s[6:7], s[4:5], s[6:7]
	s_mul_i32 s10, s7, 24
	s_mul_hi_u32 s11, s6, 24
	s_mul_i32 s12, s6, 24
	s_add_i32 s11, s11, s10
	s_waitcnt vmcnt(0)
	v_add_co_u32 v10, vcc_lo, v6, s12
	v_add_co_ci_u32_e32 v11, vcc_lo, s11, v7, vcc_lo
	s_and_saveexec_b32 s10, s0
	s_cbranch_execz .LBB1_230
; %bb.229:
	v_dual_mov_b32 v12, s1 :: v_dual_mov_b32 v13, v2
	v_dual_mov_b32 v14, 2 :: v_dual_mov_b32 v15, 1
	global_store_b128 v[10:11], v[12:15], off offset:8
.LBB1_230:
	s_or_b32 exec_lo, exec_lo, s10
	s_lshl_b64 s[6:7], s[6:7], 12
	s_mov_b32 s12, 0
	v_add_co_u32 v8, vcc_lo, v8, s6
	v_add_co_ci_u32_e32 v9, vcc_lo, s7, v9, vcc_lo
	s_mov_b32 s13, s12
	s_delay_alu instid0(VALU_DEP_2)
	v_readfirstlane_b32 s6, v8
	v_add_co_u32 v8, vcc_lo, v8, v34
	s_mov_b32 s14, s12
	s_mov_b32 s15, s12
	v_and_or_b32 v0, 0xffffff1f, v0, 32
	v_dual_mov_b32 v3, v2 :: v_dual_mov_b32 v12, s12
	v_readfirstlane_b32 s7, v9
	v_add_co_ci_u32_e32 v9, vcc_lo, 0, v9, vcc_lo
	v_dual_mov_b32 v13, s13 :: v_dual_mov_b32 v14, s14
	v_mov_b32_e32 v15, s15
	s_clause 0x3
	global_store_b128 v34, v[0:3], s[6:7]
	global_store_b128 v34, v[12:15], s[6:7] offset:16
	global_store_b128 v34, v[12:15], s[6:7] offset:32
	;; [unrolled: 1-line block ×3, first 2 shown]
	s_and_saveexec_b32 s1, s0
	s_cbranch_execz .LBB1_238
; %bb.231:
	v_dual_mov_b32 v12, 0 :: v_dual_mov_b32 v13, s4
	v_mov_b32_e32 v14, s5
	s_clause 0x1
	global_load_b64 v[15:16], v12, s[2:3] offset:32 glc
	global_load_b64 v[0:1], v12, s[2:3] offset:40
	s_waitcnt vmcnt(0)
	v_readfirstlane_b32 s6, v0
	v_readfirstlane_b32 s7, v1
	s_delay_alu instid0(VALU_DEP_1) | instskip(NEXT) | instid1(SALU_CYCLE_1)
	s_and_b64 s[6:7], s[6:7], s[4:5]
	s_mul_i32 s7, s7, 24
	s_mul_hi_u32 s10, s6, 24
	s_mul_i32 s6, s6, 24
	s_add_i32 s10, s10, s7
	v_add_co_u32 v6, vcc_lo, v6, s6
	v_add_co_ci_u32_e32 v7, vcc_lo, s10, v7, vcc_lo
	s_mov_b32 s6, exec_lo
	global_store_b64 v[6:7], v[15:16], off
	s_waitcnt_vscnt null, 0x0
	global_atomic_cmpswap_b64 v[2:3], v12, v[13:16], s[2:3] offset:32 glc
	s_waitcnt vmcnt(0)
	v_cmpx_ne_u64_e64 v[2:3], v[15:16]
	s_cbranch_execz .LBB1_234
; %bb.232:
	s_mov_b32 s7, 0
.LBB1_233:                              ; =>This Inner Loop Header: Depth=1
	v_dual_mov_b32 v0, s4 :: v_dual_mov_b32 v1, s5
	s_sleep 1
	global_store_b64 v[6:7], v[2:3], off
	s_waitcnt_vscnt null, 0x0
	global_atomic_cmpswap_b64 v[0:1], v12, v[0:3], s[2:3] offset:32 glc
	s_waitcnt vmcnt(0)
	v_cmp_eq_u64_e32 vcc_lo, v[0:1], v[2:3]
	v_dual_mov_b32 v3, v1 :: v_dual_mov_b32 v2, v0
	s_or_b32 s7, vcc_lo, s7
	s_delay_alu instid0(SALU_CYCLE_1)
	s_and_not1_b32 exec_lo, exec_lo, s7
	s_cbranch_execnz .LBB1_233
.LBB1_234:
	s_or_b32 exec_lo, exec_lo, s6
	v_mov_b32_e32 v3, 0
	s_mov_b32 s7, exec_lo
	s_mov_b32 s6, exec_lo
	v_mbcnt_lo_u32_b32 v2, s7, 0
	global_load_b64 v[0:1], v3, s[2:3] offset:16
	v_cmpx_eq_u32_e32 0, v2
	s_cbranch_execz .LBB1_236
; %bb.235:
	s_bcnt1_i32_b32 s7, s7
	s_delay_alu instid0(SALU_CYCLE_1)
	v_mov_b32_e32 v2, s7
	s_waitcnt vmcnt(0)
	global_atomic_add_u64 v[0:1], v[2:3], off offset:8
.LBB1_236:
	s_or_b32 exec_lo, exec_lo, s6
	s_waitcnt vmcnt(0)
	global_load_b64 v[2:3], v[0:1], off offset:16
	s_waitcnt vmcnt(0)
	v_cmp_eq_u64_e32 vcc_lo, 0, v[2:3]
	s_cbranch_vccnz .LBB1_238
; %bb.237:
	global_load_b32 v0, v[0:1], off offset:24
	s_waitcnt vmcnt(0)
	v_dual_mov_b32 v1, 0 :: v_dual_and_b32 v6, 0xffffff, v0
	s_waitcnt_vscnt null, 0x0
	global_store_b64 v[2:3], v[0:1], off
	v_readfirstlane_b32 m0, v6
	s_sendmsg sendmsg(MSG_INTERRUPT)
.LBB1_238:
	s_or_b32 exec_lo, exec_lo, s1
	s_branch .LBB1_242
	.p2align	6
.LBB1_239:                              ;   in Loop: Header=BB1_242 Depth=1
	s_or_b32 exec_lo, exec_lo, s1
	s_delay_alu instid0(VALU_DEP_1) | instskip(NEXT) | instid1(VALU_DEP_1)
	v_readfirstlane_b32 s1, v0
	s_cmp_eq_u32 s1, 0
	s_cbranch_scc1 .LBB1_241
; %bb.240:                              ;   in Loop: Header=BB1_242 Depth=1
	s_sleep 1
	s_cbranch_execnz .LBB1_242
	s_branch .LBB1_244
	.p2align	6
.LBB1_241:
	s_branch .LBB1_244
.LBB1_242:                              ; =>This Inner Loop Header: Depth=1
	v_mov_b32_e32 v0, 1
	s_and_saveexec_b32 s1, s0
	s_cbranch_execz .LBB1_239
; %bb.243:                              ;   in Loop: Header=BB1_242 Depth=1
	global_load_b32 v0, v[10:11], off offset:20 glc
	s_waitcnt vmcnt(0)
	buffer_gl1_inv
	buffer_gl0_inv
	v_and_b32_e32 v0, 1, v0
	s_branch .LBB1_239
.LBB1_244:
	global_load_b64 v[6:7], v[8:9], off
	s_and_saveexec_b32 s1, s0
	s_cbranch_execz .LBB1_248
; %bb.245:
	v_mov_b32_e32 v10, 0
	s_clause 0x2
	global_load_b64 v[2:3], v10, s[2:3] offset:40
	global_load_b64 v[11:12], v10, s[2:3] offset:24 glc
	global_load_b64 v[8:9], v10, s[2:3]
	s_waitcnt vmcnt(2)
	v_add_co_u32 v13, vcc_lo, v2, 1
	v_add_co_ci_u32_e32 v14, vcc_lo, 0, v3, vcc_lo
	s_delay_alu instid0(VALU_DEP_2) | instskip(NEXT) | instid1(VALU_DEP_2)
	v_add_co_u32 v0, vcc_lo, v13, s4
	v_add_co_ci_u32_e32 v1, vcc_lo, s5, v14, vcc_lo
	s_delay_alu instid0(VALU_DEP_1) | instskip(SKIP_1) | instid1(VALU_DEP_1)
	v_cmp_eq_u64_e32 vcc_lo, 0, v[0:1]
	v_dual_cndmask_b32 v1, v1, v14 :: v_dual_cndmask_b32 v0, v0, v13
	v_and_b32_e32 v3, v1, v3
	s_delay_alu instid0(VALU_DEP_2) | instskip(NEXT) | instid1(VALU_DEP_2)
	v_and_b32_e32 v2, v0, v2
	v_mul_lo_u32 v3, v3, 24
	s_delay_alu instid0(VALU_DEP_2) | instskip(SKIP_1) | instid1(VALU_DEP_2)
	v_mul_hi_u32 v13, v2, 24
	v_mul_lo_u32 v2, v2, 24
	v_add_nc_u32_e32 v3, v13, v3
	s_waitcnt vmcnt(0)
	s_delay_alu instid0(VALU_DEP_2) | instskip(SKIP_1) | instid1(VALU_DEP_3)
	v_add_co_u32 v8, vcc_lo, v8, v2
	v_mov_b32_e32 v2, v11
	v_add_co_ci_u32_e32 v9, vcc_lo, v9, v3, vcc_lo
	v_mov_b32_e32 v3, v12
	global_store_b64 v[8:9], v[11:12], off
	s_waitcnt_vscnt null, 0x0
	global_atomic_cmpswap_b64 v[2:3], v10, v[0:3], s[2:3] offset:24 glc
	s_waitcnt vmcnt(0)
	v_cmp_ne_u64_e32 vcc_lo, v[2:3], v[11:12]
	s_and_b32 exec_lo, exec_lo, vcc_lo
	s_cbranch_execz .LBB1_248
; %bb.246:
	s_mov_b32 s0, 0
.LBB1_247:                              ; =>This Inner Loop Header: Depth=1
	s_sleep 1
	global_store_b64 v[8:9], v[2:3], off
	s_waitcnt_vscnt null, 0x0
	global_atomic_cmpswap_b64 v[11:12], v10, v[0:3], s[2:3] offset:24 glc
	s_waitcnt vmcnt(0)
	v_cmp_eq_u64_e32 vcc_lo, v[11:12], v[2:3]
	v_dual_mov_b32 v2, v11 :: v_dual_mov_b32 v3, v12
	s_or_b32 s0, vcc_lo, s0
	s_delay_alu instid0(SALU_CYCLE_1)
	s_and_not1_b32 exec_lo, exec_lo, s0
	s_cbranch_execnz .LBB1_247
.LBB1_248:
	s_or_b32 exec_lo, exec_lo, s1
.LBB1_249:
	v_readfirstlane_b32 s0, v35
	v_mov_b32_e32 v10, 0
	v_mov_b32_e32 v11, 0
	s_delay_alu instid0(VALU_DEP_3) | instskip(NEXT) | instid1(VALU_DEP_1)
	v_cmp_eq_u32_e64 s0, s0, v35
	s_and_saveexec_b32 s1, s0
	s_cbranch_execz .LBB1_255
; %bb.250:
	s_waitcnt vmcnt(0)
	v_mov_b32_e32 v0, 0
	s_mov_b32 s4, exec_lo
	global_load_b64 v[12:13], v0, s[2:3] offset:24 glc
	s_waitcnt vmcnt(0)
	buffer_gl1_inv
	buffer_gl0_inv
	s_clause 0x1
	global_load_b64 v[1:2], v0, s[2:3] offset:40
	global_load_b64 v[8:9], v0, s[2:3]
	s_waitcnt vmcnt(1)
	v_and_b32_e32 v1, v1, v12
	v_and_b32_e32 v2, v2, v13
	s_delay_alu instid0(VALU_DEP_2) | instskip(NEXT) | instid1(VALU_DEP_2)
	v_mul_hi_u32 v3, v1, 24
	v_mul_lo_u32 v2, v2, 24
	v_mul_lo_u32 v1, v1, 24
	s_delay_alu instid0(VALU_DEP_2) | instskip(SKIP_1) | instid1(VALU_DEP_2)
	v_add_nc_u32_e32 v2, v3, v2
	s_waitcnt vmcnt(0)
	v_add_co_u32 v1, vcc_lo, v8, v1
	s_delay_alu instid0(VALU_DEP_2)
	v_add_co_ci_u32_e32 v2, vcc_lo, v9, v2, vcc_lo
	global_load_b64 v[10:11], v[1:2], off glc
	s_waitcnt vmcnt(0)
	global_atomic_cmpswap_b64 v[10:11], v0, v[10:13], s[2:3] offset:24 glc
	s_waitcnt vmcnt(0)
	buffer_gl1_inv
	buffer_gl0_inv
	v_cmpx_ne_u64_e64 v[10:11], v[12:13]
	s_cbranch_execz .LBB1_254
; %bb.251:
	s_mov_b32 s5, 0
	.p2align	6
.LBB1_252:                              ; =>This Inner Loop Header: Depth=1
	s_sleep 1
	s_clause 0x1
	global_load_b64 v[1:2], v0, s[2:3] offset:40
	global_load_b64 v[8:9], v0, s[2:3]
	v_dual_mov_b32 v13, v11 :: v_dual_mov_b32 v12, v10
	s_waitcnt vmcnt(1)
	s_delay_alu instid0(VALU_DEP_1) | instskip(SKIP_1) | instid1(VALU_DEP_1)
	v_and_b32_e32 v1, v1, v12
	s_waitcnt vmcnt(0)
	v_mad_u64_u32 v[10:11], null, v1, 24, v[8:9]
	s_delay_alu instid0(VALU_DEP_1) | instskip(NEXT) | instid1(VALU_DEP_1)
	v_dual_mov_b32 v1, v11 :: v_dual_and_b32 v8, v2, v13
	v_mad_u64_u32 v[2:3], null, v8, 24, v[1:2]
	s_delay_alu instid0(VALU_DEP_1)
	v_mov_b32_e32 v11, v2
	global_load_b64 v[10:11], v[10:11], off glc
	s_waitcnt vmcnt(0)
	global_atomic_cmpswap_b64 v[10:11], v0, v[10:13], s[2:3] offset:24 glc
	s_waitcnt vmcnt(0)
	buffer_gl1_inv
	buffer_gl0_inv
	v_cmp_eq_u64_e32 vcc_lo, v[10:11], v[12:13]
	s_or_b32 s5, vcc_lo, s5
	s_delay_alu instid0(SALU_CYCLE_1)
	s_and_not1_b32 exec_lo, exec_lo, s5
	s_cbranch_execnz .LBB1_252
; %bb.253:
	s_or_b32 exec_lo, exec_lo, s5
.LBB1_254:
	s_delay_alu instid0(SALU_CYCLE_1)
	s_or_b32 exec_lo, exec_lo, s4
.LBB1_255:
	s_delay_alu instid0(SALU_CYCLE_1)
	s_or_b32 exec_lo, exec_lo, s1
	s_waitcnt vmcnt(0)
	v_mov_b32_e32 v9, 0
	v_readfirstlane_b32 s4, v10
	v_readfirstlane_b32 s5, v11
	s_mov_b32 s1, exec_lo
	s_clause 0x1
	global_load_b64 v[12:13], v9, s[2:3] offset:40
	global_load_b128 v[0:3], v9, s[2:3]
	s_waitcnt vmcnt(1)
	v_readfirstlane_b32 s6, v12
	v_readfirstlane_b32 s7, v13
	s_delay_alu instid0(VALU_DEP_1) | instskip(NEXT) | instid1(SALU_CYCLE_1)
	s_and_b64 s[6:7], s[4:5], s[6:7]
	s_mul_i32 s10, s7, 24
	s_mul_hi_u32 s11, s6, 24
	s_mul_i32 s12, s6, 24
	s_add_i32 s11, s11, s10
	s_waitcnt vmcnt(0)
	v_add_co_u32 v10, vcc_lo, v0, s12
	v_add_co_ci_u32_e32 v11, vcc_lo, s11, v1, vcc_lo
	s_and_saveexec_b32 s10, s0
	s_cbranch_execz .LBB1_257
; %bb.256:
	v_dual_mov_b32 v8, s1 :: v_dual_mov_b32 v15, 1
	v_dual_mov_b32 v14, 2 :: v_dual_mov_b32 v13, v9
	s_delay_alu instid0(VALU_DEP_2)
	v_mov_b32_e32 v12, v8
	global_store_b128 v[10:11], v[12:15], off offset:8
.LBB1_257:
	s_or_b32 exec_lo, exec_lo, s10
	s_lshl_b64 s[6:7], s[6:7], 12
	s_mov_b32 s12, 0
	v_add_co_u32 v2, vcc_lo, v2, s6
	v_add_co_ci_u32_e32 v3, vcc_lo, s7, v3, vcc_lo
	s_mov_b32 s15, s12
	s_delay_alu instid0(VALU_DEP_2)
	v_add_co_u32 v12, vcc_lo, v2, v34
	s_mov_b32 s13, s12
	s_mov_b32 s14, s12
	v_and_or_b32 v6, 0xffffff1f, v6, 32
	v_dual_mov_b32 v8, 0x331 :: v_dual_mov_b32 v17, s15
	v_readfirstlane_b32 s6, v2
	v_readfirstlane_b32 s7, v3
	v_add_co_ci_u32_e32 v13, vcc_lo, 0, v3, vcc_lo
	v_dual_mov_b32 v16, s14 :: v_dual_mov_b32 v15, s13
	v_mov_b32_e32 v14, s12
	s_clause 0x3
	global_store_b128 v34, v[6:9], s[6:7]
	global_store_b128 v34, v[14:17], s[6:7] offset:16
	global_store_b128 v34, v[14:17], s[6:7] offset:32
	;; [unrolled: 1-line block ×3, first 2 shown]
	s_and_saveexec_b32 s1, s0
	s_cbranch_execz .LBB1_265
; %bb.258:
	v_dual_mov_b32 v8, 0 :: v_dual_mov_b32 v15, s5
	v_mov_b32_e32 v14, s4
	s_clause 0x1
	global_load_b64 v[16:17], v8, s[2:3] offset:32 glc
	global_load_b64 v[2:3], v8, s[2:3] offset:40
	s_waitcnt vmcnt(0)
	v_readfirstlane_b32 s6, v2
	v_readfirstlane_b32 s7, v3
	s_delay_alu instid0(VALU_DEP_1) | instskip(NEXT) | instid1(SALU_CYCLE_1)
	s_and_b64 s[6:7], s[6:7], s[4:5]
	s_mul_i32 s7, s7, 24
	s_mul_hi_u32 s10, s6, 24
	s_mul_i32 s6, s6, 24
	s_add_i32 s10, s10, s7
	v_add_co_u32 v6, vcc_lo, v0, s6
	v_add_co_ci_u32_e32 v7, vcc_lo, s10, v1, vcc_lo
	s_mov_b32 s6, exec_lo
	global_store_b64 v[6:7], v[16:17], off
	s_waitcnt_vscnt null, 0x0
	global_atomic_cmpswap_b64 v[2:3], v8, v[14:17], s[2:3] offset:32 glc
	s_waitcnt vmcnt(0)
	v_cmpx_ne_u64_e64 v[2:3], v[16:17]
	s_cbranch_execz .LBB1_261
; %bb.259:
	s_mov_b32 s7, 0
.LBB1_260:                              ; =>This Inner Loop Header: Depth=1
	v_dual_mov_b32 v0, s4 :: v_dual_mov_b32 v1, s5
	s_sleep 1
	global_store_b64 v[6:7], v[2:3], off
	s_waitcnt_vscnt null, 0x0
	global_atomic_cmpswap_b64 v[0:1], v8, v[0:3], s[2:3] offset:32 glc
	s_waitcnt vmcnt(0)
	v_cmp_eq_u64_e32 vcc_lo, v[0:1], v[2:3]
	v_dual_mov_b32 v3, v1 :: v_dual_mov_b32 v2, v0
	s_or_b32 s7, vcc_lo, s7
	s_delay_alu instid0(SALU_CYCLE_1)
	s_and_not1_b32 exec_lo, exec_lo, s7
	s_cbranch_execnz .LBB1_260
.LBB1_261:
	s_or_b32 exec_lo, exec_lo, s6
	v_mov_b32_e32 v3, 0
	s_mov_b32 s7, exec_lo
	s_mov_b32 s6, exec_lo
	v_mbcnt_lo_u32_b32 v2, s7, 0
	global_load_b64 v[0:1], v3, s[2:3] offset:16
	v_cmpx_eq_u32_e32 0, v2
	s_cbranch_execz .LBB1_263
; %bb.262:
	s_bcnt1_i32_b32 s7, s7
	s_delay_alu instid0(SALU_CYCLE_1)
	v_mov_b32_e32 v2, s7
	s_waitcnt vmcnt(0)
	global_atomic_add_u64 v[0:1], v[2:3], off offset:8
.LBB1_263:
	s_or_b32 exec_lo, exec_lo, s6
	s_waitcnt vmcnt(0)
	global_load_b64 v[2:3], v[0:1], off offset:16
	s_waitcnt vmcnt(0)
	v_cmp_eq_u64_e32 vcc_lo, 0, v[2:3]
	s_cbranch_vccnz .LBB1_265
; %bb.264:
	global_load_b32 v0, v[0:1], off offset:24
	s_waitcnt vmcnt(0)
	v_dual_mov_b32 v1, 0 :: v_dual_and_b32 v6, 0xffffff, v0
	s_waitcnt_vscnt null, 0x0
	global_store_b64 v[2:3], v[0:1], off
	v_readfirstlane_b32 m0, v6
	s_sendmsg sendmsg(MSG_INTERRUPT)
.LBB1_265:
	s_or_b32 exec_lo, exec_lo, s1
	s_branch .LBB1_269
	.p2align	6
.LBB1_266:                              ;   in Loop: Header=BB1_269 Depth=1
	s_or_b32 exec_lo, exec_lo, s1
	s_delay_alu instid0(VALU_DEP_1) | instskip(NEXT) | instid1(VALU_DEP_1)
	v_readfirstlane_b32 s1, v0
	s_cmp_eq_u32 s1, 0
	s_cbranch_scc1 .LBB1_268
; %bb.267:                              ;   in Loop: Header=BB1_269 Depth=1
	s_sleep 1
	s_cbranch_execnz .LBB1_269
	s_branch .LBB1_271
	.p2align	6
.LBB1_268:
	s_branch .LBB1_271
.LBB1_269:                              ; =>This Inner Loop Header: Depth=1
	v_mov_b32_e32 v0, 1
	s_and_saveexec_b32 s1, s0
	s_cbranch_execz .LBB1_266
; %bb.270:                              ;   in Loop: Header=BB1_269 Depth=1
	global_load_b32 v0, v[10:11], off offset:20 glc
	s_waitcnt vmcnt(0)
	buffer_gl1_inv
	buffer_gl0_inv
	v_and_b32_e32 v0, 1, v0
	s_branch .LBB1_266
.LBB1_271:
	global_load_b64 v[0:1], v[12:13], off
	s_and_saveexec_b32 s1, s0
	s_cbranch_execz .LBB1_275
; %bb.272:
	v_mov_b32_e32 v10, 0
	s_clause 0x2
	global_load_b64 v[2:3], v10, s[2:3] offset:40
	global_load_b64 v[11:12], v10, s[2:3] offset:24 glc
	global_load_b64 v[8:9], v10, s[2:3]
	s_waitcnt vmcnt(2)
	v_add_co_u32 v13, vcc_lo, v2, 1
	v_add_co_ci_u32_e32 v14, vcc_lo, 0, v3, vcc_lo
	s_delay_alu instid0(VALU_DEP_2) | instskip(NEXT) | instid1(VALU_DEP_2)
	v_add_co_u32 v6, vcc_lo, v13, s4
	v_add_co_ci_u32_e32 v7, vcc_lo, s5, v14, vcc_lo
	s_delay_alu instid0(VALU_DEP_1) | instskip(SKIP_1) | instid1(VALU_DEP_1)
	v_cmp_eq_u64_e32 vcc_lo, 0, v[6:7]
	v_dual_cndmask_b32 v7, v7, v14 :: v_dual_cndmask_b32 v6, v6, v13
	v_and_b32_e32 v3, v7, v3
	s_delay_alu instid0(VALU_DEP_2) | instskip(NEXT) | instid1(VALU_DEP_2)
	v_and_b32_e32 v2, v6, v2
	v_mul_lo_u32 v3, v3, 24
	s_delay_alu instid0(VALU_DEP_2) | instskip(SKIP_1) | instid1(VALU_DEP_2)
	v_mul_hi_u32 v13, v2, 24
	v_mul_lo_u32 v2, v2, 24
	v_add_nc_u32_e32 v3, v13, v3
	s_waitcnt vmcnt(0)
	s_delay_alu instid0(VALU_DEP_2) | instskip(SKIP_1) | instid1(VALU_DEP_3)
	v_add_co_u32 v2, vcc_lo, v8, v2
	v_mov_b32_e32 v8, v11
	v_add_co_ci_u32_e32 v3, vcc_lo, v9, v3, vcc_lo
	v_mov_b32_e32 v9, v12
	global_store_b64 v[2:3], v[11:12], off
	s_waitcnt_vscnt null, 0x0
	global_atomic_cmpswap_b64 v[8:9], v10, v[6:9], s[2:3] offset:24 glc
	s_waitcnt vmcnt(0)
	v_cmp_ne_u64_e32 vcc_lo, v[8:9], v[11:12]
	s_and_b32 exec_lo, exec_lo, vcc_lo
	s_cbranch_execz .LBB1_275
; %bb.273:
	s_mov_b32 s0, 0
.LBB1_274:                              ; =>This Inner Loop Header: Depth=1
	s_sleep 1
	global_store_b64 v[2:3], v[8:9], off
	s_waitcnt_vscnt null, 0x0
	global_atomic_cmpswap_b64 v[11:12], v10, v[6:9], s[2:3] offset:24 glc
	s_waitcnt vmcnt(0)
	v_cmp_eq_u64_e32 vcc_lo, v[11:12], v[8:9]
	v_dual_mov_b32 v8, v11 :: v_dual_mov_b32 v9, v12
	s_or_b32 s0, vcc_lo, s0
	s_delay_alu instid0(SALU_CYCLE_1)
	s_and_not1_b32 exec_lo, exec_lo, s0
	s_cbranch_execnz .LBB1_274
.LBB1_275:
	s_or_b32 exec_lo, exec_lo, s1
	v_dual_mov_b32 v7, v5 :: v_dual_mov_b32 v6, v4
	s_mov_b32 s0, 0
.LBB1_276:                              ; =>This Inner Loop Header: Depth=1
	flat_load_u8 v8, v[6:7]
	v_add_co_u32 v2, vcc_lo, v6, 1
	v_add_co_ci_u32_e32 v3, vcc_lo, 0, v7, vcc_lo
	s_delay_alu instid0(VALU_DEP_1) | instskip(SKIP_3) | instid1(SALU_CYCLE_1)
	v_dual_mov_b32 v7, v3 :: v_dual_mov_b32 v6, v2
	s_waitcnt vmcnt(0) lgkmcnt(0)
	v_cmp_eq_u16_e32 vcc_lo, 0, v8
	s_or_b32 s0, vcc_lo, s0
	s_and_not1_b32 exec_lo, exec_lo, s0
	s_cbranch_execnz .LBB1_276
; %bb.277:
	s_or_b32 exec_lo, exec_lo, s0
	s_delay_alu instid0(SALU_CYCLE_1)
	s_mov_b32 s0, exec_lo
	v_cmpx_ne_u64_e32 0, v[4:5]
	s_xor_b32 s10, exec_lo, s0
	s_cbranch_execz .LBB1_363
; %bb.278:
	v_sub_nc_u32_e32 v26, v2, v4
	v_dual_mov_b32 v7, 0 :: v_dual_and_b32 v32, 2, v0
	v_dual_mov_b32 v9, 1 :: v_dual_and_b32 v0, -3, v0
	v_mov_b32_e32 v8, 2
	s_delay_alu instid0(VALU_DEP_4)
	v_ashrrev_i32_e32 v27, 31, v26
	s_mov_b32 s12, 0
	s_mov_b32 s11, 0
	s_branch .LBB1_280
.LBB1_279:                              ;   in Loop: Header=BB1_280 Depth=1
	s_or_b32 exec_lo, exec_lo, s1
	v_sub_co_u32 v26, vcc_lo, v26, v28
	v_sub_co_ci_u32_e32 v27, vcc_lo, v27, v29, vcc_lo
	v_add_co_u32 v4, s0, v4, v28
	s_delay_alu instid0(VALU_DEP_1) | instskip(NEXT) | instid1(VALU_DEP_3)
	v_add_co_ci_u32_e64 v5, s0, v5, v29, s0
	v_cmp_eq_u64_e32 vcc_lo, 0, v[26:27]
	s_or_b32 s11, vcc_lo, s11
	s_delay_alu instid0(SALU_CYCLE_1)
	s_and_not1_b32 exec_lo, exec_lo, s11
	s_cbranch_execz .LBB1_362
.LBB1_280:                              ; =>This Loop Header: Depth=1
                                        ;     Child Loop BB1_283 Depth 2
                                        ;     Child Loop BB1_291 Depth 2
	;; [unrolled: 1-line block ×11, first 2 shown]
	s_delay_alu instid0(VALU_DEP_1)
	v_cmp_gt_u64_e32 vcc_lo, 56, v[26:27]
	s_mov_b32 s1, exec_lo
                                        ; implicit-def: $vgpr2_vgpr3
                                        ; implicit-def: $sgpr4
	v_dual_cndmask_b32 v29, 0, v27 :: v_dual_cndmask_b32 v28, 56, v26
	v_cmpx_gt_u64_e32 8, v[26:27]
	s_xor_b32 s1, exec_lo, s1
	s_cbranch_execz .LBB1_286
; %bb.281:                              ;   in Loop: Header=BB1_280 Depth=1
	s_waitcnt vmcnt(0)
	v_mov_b32_e32 v2, 0
	v_mov_b32_e32 v3, 0
	s_mov_b64 s[4:5], 0
	s_mov_b32 s6, exec_lo
	v_cmpx_ne_u64_e32 0, v[26:27]
	s_cbranch_execz .LBB1_285
; %bb.282:                              ;   in Loop: Header=BB1_280 Depth=1
	v_lshlrev_b64 v[10:11], 3, v[28:29]
	v_mov_b32_e32 v2, 0
	v_dual_mov_b32 v3, 0 :: v_dual_mov_b32 v12, v5
	v_mov_b32_e32 v11, v4
	s_mov_b32 s7, 0
	.p2align	6
.LBB1_283:                              ;   Parent Loop BB1_280 Depth=1
                                        ; =>  This Inner Loop Header: Depth=2
	flat_load_u8 v6, v[11:12]
	v_mov_b32_e32 v14, s12
	v_add_co_u32 v11, vcc_lo, v11, 1
	v_add_co_ci_u32_e32 v12, vcc_lo, 0, v12, vcc_lo
	s_waitcnt vmcnt(0) lgkmcnt(0)
	v_and_b32_e32 v13, 0xffff, v6
	s_delay_alu instid0(VALU_DEP_1) | instskip(SKIP_3) | instid1(VALU_DEP_2)
	v_lshlrev_b64 v[13:14], s4, v[13:14]
	s_add_u32 s4, s4, 8
	s_addc_u32 s5, s5, 0
	v_cmp_eq_u32_e64 s0, s4, v10
	v_or_b32_e32 v3, v14, v3
	s_delay_alu instid0(VALU_DEP_3) | instskip(NEXT) | instid1(VALU_DEP_3)
	v_or_b32_e32 v2, v13, v2
	s_or_b32 s7, s0, s7
	s_delay_alu instid0(SALU_CYCLE_1)
	s_and_not1_b32 exec_lo, exec_lo, s7
	s_cbranch_execnz .LBB1_283
; %bb.284:                              ;   in Loop: Header=BB1_280 Depth=1
	s_or_b32 exec_lo, exec_lo, s7
.LBB1_285:                              ;   in Loop: Header=BB1_280 Depth=1
	s_delay_alu instid0(SALU_CYCLE_1)
	s_or_b32 exec_lo, exec_lo, s6
	s_mov_b32 s4, 0
.LBB1_286:                              ;   in Loop: Header=BB1_280 Depth=1
	s_or_saveexec_b32 s0, s1
	v_dual_mov_b32 v6, s4 :: v_dual_mov_b32 v23, v5
	v_mov_b32_e32 v22, v4
	s_xor_b32 exec_lo, exec_lo, s0
	s_cbranch_execz .LBB1_288
; %bb.287:                              ;   in Loop: Header=BB1_280 Depth=1
	s_waitcnt vmcnt(0)
	flat_load_b64 v[2:3], v[4:5]
	v_add_co_u32 v22, vcc_lo, v4, 8
	v_add_co_ci_u32_e32 v23, vcc_lo, 0, v5, vcc_lo
	s_waitcnt vmcnt(0) lgkmcnt(0)
	v_and_b32_e32 v6, 0xff, v3
	v_and_b32_e32 v10, 0xff00, v3
	;; [unrolled: 1-line block ×4, first 2 shown]
	v_or3_b32 v2, v2, 0, 0
	s_delay_alu instid0(VALU_DEP_4) | instskip(SKIP_1) | instid1(VALU_DEP_2)
	v_or_b32_e32 v10, v6, v10
	v_add_nc_u32_e32 v6, -8, v28
	v_or3_b32 v3, v10, v11, v3
.LBB1_288:                              ;   in Loop: Header=BB1_280 Depth=1
	s_or_b32 exec_lo, exec_lo, s0
                                        ; implicit-def: $vgpr10_vgpr11
                                        ; implicit-def: $sgpr1
	s_delay_alu instid0(SALU_CYCLE_1) | instskip(NEXT) | instid1(VALU_DEP_2)
	s_mov_b32 s0, exec_lo
	v_cmpx_gt_u32_e32 8, v6
	s_xor_b32 s6, exec_lo, s0
	s_cbranch_execz .LBB1_294
; %bb.289:                              ;   in Loop: Header=BB1_280 Depth=1
	v_mov_b32_e32 v10, 0
	v_mov_b32_e32 v11, 0
	s_mov_b32 s7, exec_lo
	v_cmpx_ne_u32_e32 0, v6
	s_cbranch_execz .LBB1_293
; %bb.290:                              ;   in Loop: Header=BB1_280 Depth=1
	v_mov_b32_e32 v10, 0
	v_mov_b32_e32 v11, 0
	s_mov_b64 s[0:1], 0
	s_mov_b32 s13, 0
	s_mov_b64 s[4:5], 0
	.p2align	6
.LBB1_291:                              ;   Parent Loop BB1_280 Depth=1
                                        ; =>  This Inner Loop Header: Depth=2
	s_delay_alu instid0(SALU_CYCLE_1)
	v_add_co_u32 v12, vcc_lo, v22, s4
	v_add_co_ci_u32_e32 v13, vcc_lo, s5, v23, vcc_lo
	s_add_u32 s4, s4, 1
	s_addc_u32 s5, s5, 0
	v_cmp_eq_u32_e32 vcc_lo, s4, v6
	flat_load_u8 v12, v[12:13]
	s_waitcnt vmcnt(0) lgkmcnt(0)
	v_dual_mov_b32 v13, s12 :: v_dual_and_b32 v12, 0xffff, v12
	s_delay_alu instid0(VALU_DEP_1) | instskip(SKIP_3) | instid1(VALU_DEP_1)
	v_lshlrev_b64 v[12:13], s0, v[12:13]
	s_add_u32 s0, s0, 8
	s_addc_u32 s1, s1, 0
	s_or_b32 s13, vcc_lo, s13
	v_or_b32_e32 v11, v13, v11
	s_delay_alu instid0(VALU_DEP_2)
	v_or_b32_e32 v10, v12, v10
	s_and_not1_b32 exec_lo, exec_lo, s13
	s_cbranch_execnz .LBB1_291
; %bb.292:                              ;   in Loop: Header=BB1_280 Depth=1
	s_or_b32 exec_lo, exec_lo, s13
.LBB1_293:                              ;   in Loop: Header=BB1_280 Depth=1
	s_delay_alu instid0(SALU_CYCLE_1)
	s_or_b32 exec_lo, exec_lo, s7
	s_mov_b32 s1, 0
                                        ; implicit-def: $vgpr6
.LBB1_294:                              ;   in Loop: Header=BB1_280 Depth=1
	s_or_saveexec_b32 s0, s6
	v_mov_b32_e32 v14, s1
	s_xor_b32 exec_lo, exec_lo, s0
	s_cbranch_execz .LBB1_296
; %bb.295:                              ;   in Loop: Header=BB1_280 Depth=1
	flat_load_b64 v[10:11], v[22:23]
	v_add_co_u32 v22, vcc_lo, v22, 8
	v_add_nc_u32_e32 v14, -8, v6
	v_add_co_ci_u32_e32 v23, vcc_lo, 0, v23, vcc_lo
	s_waitcnt vmcnt(0) lgkmcnt(0)
	v_and_b32_e32 v12, 0xff, v11
	v_and_b32_e32 v13, 0xff00, v11
	;; [unrolled: 1-line block ×4, first 2 shown]
	v_or3_b32 v10, v10, 0, 0
	s_delay_alu instid0(VALU_DEP_4) | instskip(NEXT) | instid1(VALU_DEP_1)
	v_or_b32_e32 v12, v12, v13
	v_or3_b32 v11, v12, v15, v11
.LBB1_296:                              ;   in Loop: Header=BB1_280 Depth=1
	s_or_b32 exec_lo, exec_lo, s0
                                        ; implicit-def: $sgpr1
	s_delay_alu instid0(SALU_CYCLE_1)
	s_mov_b32 s0, exec_lo
	v_cmpx_gt_u32_e32 8, v14
	s_xor_b32 s6, exec_lo, s0
	s_cbranch_execz .LBB1_302
; %bb.297:                              ;   in Loop: Header=BB1_280 Depth=1
	v_mov_b32_e32 v12, 0
	v_mov_b32_e32 v13, 0
	s_mov_b32 s7, exec_lo
	v_cmpx_ne_u32_e32 0, v14
	s_cbranch_execz .LBB1_301
; %bb.298:                              ;   in Loop: Header=BB1_280 Depth=1
	v_mov_b32_e32 v12, 0
	v_mov_b32_e32 v13, 0
	s_mov_b64 s[0:1], 0
	s_mov_b32 s13, 0
	s_mov_b64 s[4:5], 0
	.p2align	6
.LBB1_299:                              ;   Parent Loop BB1_280 Depth=1
                                        ; =>  This Inner Loop Header: Depth=2
	s_delay_alu instid0(SALU_CYCLE_1)
	v_add_co_u32 v15, vcc_lo, v22, s4
	v_add_co_ci_u32_e32 v16, vcc_lo, s5, v23, vcc_lo
	s_add_u32 s4, s4, 1
	s_addc_u32 s5, s5, 0
	v_cmp_eq_u32_e32 vcc_lo, s4, v14
	flat_load_u8 v6, v[15:16]
	s_waitcnt vmcnt(0) lgkmcnt(0)
	v_dual_mov_b32 v16, s12 :: v_dual_and_b32 v15, 0xffff, v6
	s_delay_alu instid0(VALU_DEP_1) | instskip(SKIP_3) | instid1(VALU_DEP_1)
	v_lshlrev_b64 v[15:16], s0, v[15:16]
	s_add_u32 s0, s0, 8
	s_addc_u32 s1, s1, 0
	s_or_b32 s13, vcc_lo, s13
	v_or_b32_e32 v13, v16, v13
	s_delay_alu instid0(VALU_DEP_2)
	v_or_b32_e32 v12, v15, v12
	s_and_not1_b32 exec_lo, exec_lo, s13
	s_cbranch_execnz .LBB1_299
; %bb.300:                              ;   in Loop: Header=BB1_280 Depth=1
	s_or_b32 exec_lo, exec_lo, s13
.LBB1_301:                              ;   in Loop: Header=BB1_280 Depth=1
	s_delay_alu instid0(SALU_CYCLE_1)
	s_or_b32 exec_lo, exec_lo, s7
	s_mov_b32 s1, 0
                                        ; implicit-def: $vgpr14
.LBB1_302:                              ;   in Loop: Header=BB1_280 Depth=1
	s_or_saveexec_b32 s0, s6
	v_mov_b32_e32 v6, s1
	s_xor_b32 exec_lo, exec_lo, s0
	s_cbranch_execz .LBB1_304
; %bb.303:                              ;   in Loop: Header=BB1_280 Depth=1
	flat_load_b64 v[12:13], v[22:23]
	v_add_co_u32 v22, vcc_lo, v22, 8
	v_add_co_ci_u32_e32 v23, vcc_lo, 0, v23, vcc_lo
	s_waitcnt vmcnt(0) lgkmcnt(0)
	v_and_b32_e32 v6, 0xff, v13
	v_and_b32_e32 v15, 0xff00, v13
	;; [unrolled: 1-line block ×4, first 2 shown]
	v_or3_b32 v12, v12, 0, 0
	s_delay_alu instid0(VALU_DEP_4) | instskip(SKIP_1) | instid1(VALU_DEP_2)
	v_or_b32_e32 v15, v6, v15
	v_add_nc_u32_e32 v6, -8, v14
	v_or3_b32 v13, v15, v16, v13
.LBB1_304:                              ;   in Loop: Header=BB1_280 Depth=1
	s_or_b32 exec_lo, exec_lo, s0
                                        ; implicit-def: $vgpr14_vgpr15
                                        ; implicit-def: $sgpr1
	s_delay_alu instid0(SALU_CYCLE_1) | instskip(NEXT) | instid1(VALU_DEP_1)
	s_mov_b32 s0, exec_lo
	v_cmpx_gt_u32_e32 8, v6
	s_xor_b32 s6, exec_lo, s0
	s_cbranch_execz .LBB1_310
; %bb.305:                              ;   in Loop: Header=BB1_280 Depth=1
	v_mov_b32_e32 v14, 0
	v_mov_b32_e32 v15, 0
	s_mov_b32 s7, exec_lo
	v_cmpx_ne_u32_e32 0, v6
	s_cbranch_execz .LBB1_309
; %bb.306:                              ;   in Loop: Header=BB1_280 Depth=1
	v_mov_b32_e32 v14, 0
	v_mov_b32_e32 v15, 0
	s_mov_b64 s[0:1], 0
	s_mov_b32 s13, 0
	s_mov_b64 s[4:5], 0
	.p2align	6
.LBB1_307:                              ;   Parent Loop BB1_280 Depth=1
                                        ; =>  This Inner Loop Header: Depth=2
	s_delay_alu instid0(SALU_CYCLE_1)
	v_add_co_u32 v16, vcc_lo, v22, s4
	v_add_co_ci_u32_e32 v17, vcc_lo, s5, v23, vcc_lo
	s_add_u32 s4, s4, 1
	s_addc_u32 s5, s5, 0
	v_cmp_eq_u32_e32 vcc_lo, s4, v6
	flat_load_u8 v16, v[16:17]
	s_waitcnt vmcnt(0) lgkmcnt(0)
	v_dual_mov_b32 v17, s12 :: v_dual_and_b32 v16, 0xffff, v16
	s_delay_alu instid0(VALU_DEP_1) | instskip(SKIP_3) | instid1(VALU_DEP_1)
	v_lshlrev_b64 v[16:17], s0, v[16:17]
	s_add_u32 s0, s0, 8
	s_addc_u32 s1, s1, 0
	s_or_b32 s13, vcc_lo, s13
	v_or_b32_e32 v15, v17, v15
	s_delay_alu instid0(VALU_DEP_2)
	v_or_b32_e32 v14, v16, v14
	s_and_not1_b32 exec_lo, exec_lo, s13
	s_cbranch_execnz .LBB1_307
; %bb.308:                              ;   in Loop: Header=BB1_280 Depth=1
	s_or_b32 exec_lo, exec_lo, s13
.LBB1_309:                              ;   in Loop: Header=BB1_280 Depth=1
	s_delay_alu instid0(SALU_CYCLE_1)
	s_or_b32 exec_lo, exec_lo, s7
	s_mov_b32 s1, 0
                                        ; implicit-def: $vgpr6
.LBB1_310:                              ;   in Loop: Header=BB1_280 Depth=1
	s_or_saveexec_b32 s0, s6
	v_mov_b32_e32 v18, s1
	s_xor_b32 exec_lo, exec_lo, s0
	s_cbranch_execz .LBB1_312
; %bb.311:                              ;   in Loop: Header=BB1_280 Depth=1
	flat_load_b64 v[14:15], v[22:23]
	v_add_co_u32 v22, vcc_lo, v22, 8
	v_add_nc_u32_e32 v18, -8, v6
	v_add_co_ci_u32_e32 v23, vcc_lo, 0, v23, vcc_lo
	s_waitcnt vmcnt(0) lgkmcnt(0)
	v_and_b32_e32 v16, 0xff, v15
	v_and_b32_e32 v17, 0xff00, v15
	;; [unrolled: 1-line block ×4, first 2 shown]
	v_or3_b32 v14, v14, 0, 0
	s_delay_alu instid0(VALU_DEP_4) | instskip(NEXT) | instid1(VALU_DEP_1)
	v_or_b32_e32 v16, v16, v17
	v_or3_b32 v15, v16, v19, v15
.LBB1_312:                              ;   in Loop: Header=BB1_280 Depth=1
	s_or_b32 exec_lo, exec_lo, s0
                                        ; implicit-def: $sgpr1
	s_delay_alu instid0(SALU_CYCLE_1)
	s_mov_b32 s0, exec_lo
	v_cmpx_gt_u32_e32 8, v18
	s_xor_b32 s6, exec_lo, s0
	s_cbranch_execz .LBB1_318
; %bb.313:                              ;   in Loop: Header=BB1_280 Depth=1
	v_mov_b32_e32 v16, 0
	v_mov_b32_e32 v17, 0
	s_mov_b32 s7, exec_lo
	v_cmpx_ne_u32_e32 0, v18
	s_cbranch_execz .LBB1_317
; %bb.314:                              ;   in Loop: Header=BB1_280 Depth=1
	v_mov_b32_e32 v16, 0
	v_mov_b32_e32 v17, 0
	s_mov_b64 s[0:1], 0
	s_mov_b32 s13, 0
	s_mov_b64 s[4:5], 0
	.p2align	6
.LBB1_315:                              ;   Parent Loop BB1_280 Depth=1
                                        ; =>  This Inner Loop Header: Depth=2
	s_delay_alu instid0(SALU_CYCLE_1)
	v_add_co_u32 v19, vcc_lo, v22, s4
	v_add_co_ci_u32_e32 v20, vcc_lo, s5, v23, vcc_lo
	s_add_u32 s4, s4, 1
	s_addc_u32 s5, s5, 0
	v_cmp_eq_u32_e32 vcc_lo, s4, v18
	flat_load_u8 v6, v[19:20]
	s_waitcnt vmcnt(0) lgkmcnt(0)
	v_dual_mov_b32 v20, s12 :: v_dual_and_b32 v19, 0xffff, v6
	s_delay_alu instid0(VALU_DEP_1) | instskip(SKIP_3) | instid1(VALU_DEP_1)
	v_lshlrev_b64 v[19:20], s0, v[19:20]
	s_add_u32 s0, s0, 8
	s_addc_u32 s1, s1, 0
	s_or_b32 s13, vcc_lo, s13
	v_or_b32_e32 v17, v20, v17
	s_delay_alu instid0(VALU_DEP_2)
	v_or_b32_e32 v16, v19, v16
	s_and_not1_b32 exec_lo, exec_lo, s13
	s_cbranch_execnz .LBB1_315
; %bb.316:                              ;   in Loop: Header=BB1_280 Depth=1
	s_or_b32 exec_lo, exec_lo, s13
.LBB1_317:                              ;   in Loop: Header=BB1_280 Depth=1
	s_delay_alu instid0(SALU_CYCLE_1)
	s_or_b32 exec_lo, exec_lo, s7
	s_mov_b32 s1, 0
                                        ; implicit-def: $vgpr18
.LBB1_318:                              ;   in Loop: Header=BB1_280 Depth=1
	s_or_saveexec_b32 s0, s6
	v_mov_b32_e32 v6, s1
	s_xor_b32 exec_lo, exec_lo, s0
	s_cbranch_execz .LBB1_320
; %bb.319:                              ;   in Loop: Header=BB1_280 Depth=1
	flat_load_b64 v[16:17], v[22:23]
	v_add_co_u32 v22, vcc_lo, v22, 8
	v_add_co_ci_u32_e32 v23, vcc_lo, 0, v23, vcc_lo
	s_waitcnt vmcnt(0) lgkmcnt(0)
	v_and_b32_e32 v6, 0xff, v17
	v_and_b32_e32 v19, 0xff00, v17
	v_and_b32_e32 v20, 0xff0000, v17
	v_and_b32_e32 v17, 0xff000000, v17
	v_or3_b32 v16, v16, 0, 0
	s_delay_alu instid0(VALU_DEP_4) | instskip(SKIP_1) | instid1(VALU_DEP_2)
	v_or_b32_e32 v19, v6, v19
	v_add_nc_u32_e32 v6, -8, v18
	v_or3_b32 v17, v19, v20, v17
.LBB1_320:                              ;   in Loop: Header=BB1_280 Depth=1
	s_or_b32 exec_lo, exec_lo, s0
                                        ; implicit-def: $vgpr18_vgpr19
                                        ; implicit-def: $sgpr1
	s_delay_alu instid0(SALU_CYCLE_1) | instskip(NEXT) | instid1(VALU_DEP_1)
	s_mov_b32 s0, exec_lo
	v_cmpx_gt_u32_e32 8, v6
	s_xor_b32 s6, exec_lo, s0
	s_cbranch_execz .LBB1_326
; %bb.321:                              ;   in Loop: Header=BB1_280 Depth=1
	v_mov_b32_e32 v18, 0
	v_mov_b32_e32 v19, 0
	s_mov_b32 s7, exec_lo
	v_cmpx_ne_u32_e32 0, v6
	s_cbranch_execz .LBB1_325
; %bb.322:                              ;   in Loop: Header=BB1_280 Depth=1
	v_mov_b32_e32 v18, 0
	v_mov_b32_e32 v19, 0
	s_mov_b64 s[0:1], 0
	s_mov_b32 s13, 0
	s_mov_b64 s[4:5], 0
	.p2align	6
.LBB1_323:                              ;   Parent Loop BB1_280 Depth=1
                                        ; =>  This Inner Loop Header: Depth=2
	s_delay_alu instid0(SALU_CYCLE_1)
	v_add_co_u32 v20, vcc_lo, v22, s4
	v_add_co_ci_u32_e32 v21, vcc_lo, s5, v23, vcc_lo
	s_add_u32 s4, s4, 1
	s_addc_u32 s5, s5, 0
	v_cmp_eq_u32_e32 vcc_lo, s4, v6
	flat_load_u8 v20, v[20:21]
	s_waitcnt vmcnt(0) lgkmcnt(0)
	v_dual_mov_b32 v21, s12 :: v_dual_and_b32 v20, 0xffff, v20
	s_delay_alu instid0(VALU_DEP_1) | instskip(SKIP_3) | instid1(VALU_DEP_1)
	v_lshlrev_b64 v[20:21], s0, v[20:21]
	s_add_u32 s0, s0, 8
	s_addc_u32 s1, s1, 0
	s_or_b32 s13, vcc_lo, s13
	v_or_b32_e32 v19, v21, v19
	s_delay_alu instid0(VALU_DEP_2)
	v_or_b32_e32 v18, v20, v18
	s_and_not1_b32 exec_lo, exec_lo, s13
	s_cbranch_execnz .LBB1_323
; %bb.324:                              ;   in Loop: Header=BB1_280 Depth=1
	s_or_b32 exec_lo, exec_lo, s13
.LBB1_325:                              ;   in Loop: Header=BB1_280 Depth=1
	s_delay_alu instid0(SALU_CYCLE_1)
	s_or_b32 exec_lo, exec_lo, s7
	s_mov_b32 s1, 0
                                        ; implicit-def: $vgpr6
.LBB1_326:                              ;   in Loop: Header=BB1_280 Depth=1
	s_or_saveexec_b32 s0, s6
	v_mov_b32_e32 v24, s1
	s_xor_b32 exec_lo, exec_lo, s0
	s_cbranch_execz .LBB1_328
; %bb.327:                              ;   in Loop: Header=BB1_280 Depth=1
	flat_load_b64 v[18:19], v[22:23]
	v_add_co_u32 v22, vcc_lo, v22, 8
	v_add_nc_u32_e32 v24, -8, v6
	v_add_co_ci_u32_e32 v23, vcc_lo, 0, v23, vcc_lo
	s_waitcnt vmcnt(0) lgkmcnt(0)
	v_and_b32_e32 v20, 0xff, v19
	v_and_b32_e32 v21, 0xff00, v19
	;; [unrolled: 1-line block ×4, first 2 shown]
	v_or3_b32 v18, v18, 0, 0
	s_delay_alu instid0(VALU_DEP_4) | instskip(NEXT) | instid1(VALU_DEP_1)
	v_or_b32_e32 v20, v20, v21
	v_or3_b32 v19, v20, v25, v19
.LBB1_328:                              ;   in Loop: Header=BB1_280 Depth=1
	s_or_b32 exec_lo, exec_lo, s0
	s_delay_alu instid0(SALU_CYCLE_1)
	s_mov_b32 s0, exec_lo
	v_cmpx_gt_u32_e32 8, v24
	s_xor_b32 s4, exec_lo, s0
	s_cbranch_execz .LBB1_334
; %bb.329:                              ;   in Loop: Header=BB1_280 Depth=1
	v_mov_b32_e32 v20, 0
	v_mov_b32_e32 v21, 0
	s_mov_b32 s5, exec_lo
	v_cmpx_ne_u32_e32 0, v24
	s_cbranch_execz .LBB1_333
; %bb.330:                              ;   in Loop: Header=BB1_280 Depth=1
	v_mov_b32_e32 v20, 0
	v_mov_b32_e32 v21, 0
	s_mov_b64 s[0:1], 0
	s_mov_b32 s6, 0
	.p2align	6
.LBB1_331:                              ;   Parent Loop BB1_280 Depth=1
                                        ; =>  This Inner Loop Header: Depth=2
	flat_load_u8 v6, v[22:23]
	v_dual_mov_b32 v31, s12 :: v_dual_add_nc_u32 v24, -1, v24
	v_add_co_u32 v22, vcc_lo, v22, 1
	v_add_co_ci_u32_e32 v23, vcc_lo, 0, v23, vcc_lo
	s_delay_alu instid0(VALU_DEP_3) | instskip(SKIP_2) | instid1(VALU_DEP_1)
	v_cmp_eq_u32_e32 vcc_lo, 0, v24
	s_waitcnt vmcnt(0) lgkmcnt(0)
	v_and_b32_e32 v30, 0xffff, v6
	v_lshlrev_b64 v[30:31], s0, v[30:31]
	s_add_u32 s0, s0, 8
	s_addc_u32 s1, s1, 0
	s_or_b32 s6, vcc_lo, s6
	s_delay_alu instid0(VALU_DEP_1) | instskip(NEXT) | instid1(VALU_DEP_2)
	v_or_b32_e32 v21, v31, v21
	v_or_b32_e32 v20, v30, v20
	s_and_not1_b32 exec_lo, exec_lo, s6
	s_cbranch_execnz .LBB1_331
; %bb.332:                              ;   in Loop: Header=BB1_280 Depth=1
	s_or_b32 exec_lo, exec_lo, s6
.LBB1_333:                              ;   in Loop: Header=BB1_280 Depth=1
	s_delay_alu instid0(SALU_CYCLE_1)
	s_or_b32 exec_lo, exec_lo, s5
                                        ; implicit-def: $vgpr22_vgpr23
.LBB1_334:                              ;   in Loop: Header=BB1_280 Depth=1
	s_and_not1_saveexec_b32 s0, s4
	s_cbranch_execz .LBB1_336
; %bb.335:                              ;   in Loop: Header=BB1_280 Depth=1
	flat_load_b64 v[20:21], v[22:23]
	s_waitcnt vmcnt(0) lgkmcnt(0)
	v_and_b32_e32 v6, 0xff, v21
	v_and_b32_e32 v22, 0xff00, v21
	;; [unrolled: 1-line block ×4, first 2 shown]
	v_or3_b32 v20, v20, 0, 0
	s_delay_alu instid0(VALU_DEP_4) | instskip(NEXT) | instid1(VALU_DEP_1)
	v_or_b32_e32 v6, v6, v22
	v_or3_b32 v21, v6, v23, v21
.LBB1_336:                              ;   in Loop: Header=BB1_280 Depth=1
	s_or_b32 exec_lo, exec_lo, s0
	v_readfirstlane_b32 s0, v35
	v_mov_b32_e32 v30, 0
	v_mov_b32_e32 v31, 0
	s_delay_alu instid0(VALU_DEP_3) | instskip(NEXT) | instid1(VALU_DEP_1)
	v_cmp_eq_u32_e64 s0, s0, v35
	s_and_saveexec_b32 s1, s0
	s_cbranch_execz .LBB1_342
; %bb.337:                              ;   in Loop: Header=BB1_280 Depth=1
	global_load_b64 v[24:25], v7, s[2:3] offset:24 glc
	s_waitcnt vmcnt(0)
	buffer_gl1_inv
	buffer_gl0_inv
	s_clause 0x1
	global_load_b64 v[22:23], v7, s[2:3] offset:40
	global_load_b64 v[30:31], v7, s[2:3]
	s_mov_b32 s4, exec_lo
	s_waitcnt vmcnt(1)
	v_and_b32_e32 v6, v23, v25
	v_and_b32_e32 v22, v22, v24
	s_delay_alu instid0(VALU_DEP_2) | instskip(NEXT) | instid1(VALU_DEP_2)
	v_mul_lo_u32 v6, v6, 24
	v_mul_hi_u32 v23, v22, 24
	v_mul_lo_u32 v22, v22, 24
	s_delay_alu instid0(VALU_DEP_2) | instskip(SKIP_1) | instid1(VALU_DEP_2)
	v_add_nc_u32_e32 v6, v23, v6
	s_waitcnt vmcnt(0)
	v_add_co_u32 v22, vcc_lo, v30, v22
	s_delay_alu instid0(VALU_DEP_2)
	v_add_co_ci_u32_e32 v23, vcc_lo, v31, v6, vcc_lo
	global_load_b64 v[22:23], v[22:23], off glc
	s_waitcnt vmcnt(0)
	global_atomic_cmpswap_b64 v[30:31], v7, v[22:25], s[2:3] offset:24 glc
	s_waitcnt vmcnt(0)
	buffer_gl1_inv
	buffer_gl0_inv
	v_cmpx_ne_u64_e64 v[30:31], v[24:25]
	s_cbranch_execz .LBB1_341
; %bb.338:                              ;   in Loop: Header=BB1_280 Depth=1
	s_mov_b32 s5, 0
	.p2align	6
.LBB1_339:                              ;   Parent Loop BB1_280 Depth=1
                                        ; =>  This Inner Loop Header: Depth=2
	s_sleep 1
	s_clause 0x1
	global_load_b64 v[22:23], v7, s[2:3] offset:40
	global_load_b64 v[36:37], v7, s[2:3]
	v_dual_mov_b32 v24, v30 :: v_dual_mov_b32 v25, v31
	s_waitcnt vmcnt(1)
	s_delay_alu instid0(VALU_DEP_1) | instskip(NEXT) | instid1(VALU_DEP_2)
	v_and_b32_e32 v6, v22, v24
	v_and_b32_e32 v33, v23, v25
	s_waitcnt vmcnt(0)
	s_delay_alu instid0(VALU_DEP_2) | instskip(NEXT) | instid1(VALU_DEP_1)
	v_mad_u64_u32 v[30:31], null, v6, 24, v[36:37]
	v_mov_b32_e32 v6, v31
	s_delay_alu instid0(VALU_DEP_1) | instskip(NEXT) | instid1(VALU_DEP_1)
	v_mad_u64_u32 v[22:23], null, v33, 24, v[6:7]
	v_mov_b32_e32 v31, v22
	global_load_b64 v[22:23], v[30:31], off glc
	s_waitcnt vmcnt(0)
	global_atomic_cmpswap_b64 v[30:31], v7, v[22:25], s[2:3] offset:24 glc
	s_waitcnt vmcnt(0)
	buffer_gl1_inv
	buffer_gl0_inv
	v_cmp_eq_u64_e32 vcc_lo, v[30:31], v[24:25]
	s_or_b32 s5, vcc_lo, s5
	s_delay_alu instid0(SALU_CYCLE_1)
	s_and_not1_b32 exec_lo, exec_lo, s5
	s_cbranch_execnz .LBB1_339
; %bb.340:                              ;   in Loop: Header=BB1_280 Depth=1
	s_or_b32 exec_lo, exec_lo, s5
.LBB1_341:                              ;   in Loop: Header=BB1_280 Depth=1
	s_delay_alu instid0(SALU_CYCLE_1)
	s_or_b32 exec_lo, exec_lo, s4
.LBB1_342:                              ;   in Loop: Header=BB1_280 Depth=1
	s_delay_alu instid0(SALU_CYCLE_1)
	s_or_b32 exec_lo, exec_lo, s1
	s_clause 0x1
	global_load_b64 v[36:37], v7, s[2:3] offset:40
	global_load_b128 v[22:25], v7, s[2:3]
	v_readfirstlane_b32 s4, v30
	v_readfirstlane_b32 s5, v31
	s_mov_b32 s1, exec_lo
	s_waitcnt vmcnt(1)
	v_readfirstlane_b32 s6, v36
	v_readfirstlane_b32 s7, v37
	s_delay_alu instid0(VALU_DEP_1) | instskip(NEXT) | instid1(SALU_CYCLE_1)
	s_and_b64 s[6:7], s[4:5], s[6:7]
	s_mul_i32 s13, s7, 24
	s_mul_hi_u32 s14, s6, 24
	s_mul_i32 s15, s6, 24
	s_add_i32 s14, s14, s13
	s_waitcnt vmcnt(0)
	v_add_co_u32 v30, vcc_lo, v22, s15
	v_add_co_ci_u32_e32 v31, vcc_lo, s14, v23, vcc_lo
	s_and_saveexec_b32 s13, s0
	s_cbranch_execz .LBB1_344
; %bb.343:                              ;   in Loop: Header=BB1_280 Depth=1
	v_mov_b32_e32 v6, s1
	global_store_b128 v[30:31], v[6:9], off offset:8
.LBB1_344:                              ;   in Loop: Header=BB1_280 Depth=1
	s_or_b32 exec_lo, exec_lo, s13
	v_cmp_lt_u64_e32 vcc_lo, 56, v[26:27]
	v_or_b32_e32 v6, 0, v1
	v_or_b32_e32 v33, v0, v32
	v_lshl_add_u32 v36, v28, 2, 28
	s_lshl_b64 s[6:7], s[6:7], 12
	s_delay_alu instid0(SALU_CYCLE_1) | instskip(NEXT) | instid1(VALU_DEP_1)
	v_add_co_u32 v24, s1, v24, s6
	v_add_co_ci_u32_e64 v25, s1, s7, v25, s1
	v_dual_cndmask_b32 v1, v6, v1 :: v_dual_cndmask_b32 v0, v33, v0
	v_and_b32_e32 v6, 0x1e0, v36
	s_delay_alu instid0(VALU_DEP_4) | instskip(NEXT) | instid1(VALU_DEP_4)
	v_readfirstlane_b32 s6, v24
	v_readfirstlane_b32 s7, v25
	s_delay_alu instid0(VALU_DEP_3)
	v_and_or_b32 v0, 0xffffff1f, v0, v6
	s_clause 0x3
	global_store_b128 v34, v[0:3], s[6:7]
	global_store_b128 v34, v[10:13], s[6:7] offset:16
	global_store_b128 v34, v[14:17], s[6:7] offset:32
	;; [unrolled: 1-line block ×3, first 2 shown]
	s_and_saveexec_b32 s1, s0
	s_cbranch_execz .LBB1_352
; %bb.345:                              ;   in Loop: Header=BB1_280 Depth=1
	s_clause 0x1
	global_load_b64 v[14:15], v7, s[2:3] offset:32 glc
	global_load_b64 v[0:1], v7, s[2:3] offset:40
	v_dual_mov_b32 v12, s4 :: v_dual_mov_b32 v13, s5
	s_waitcnt vmcnt(0)
	v_readfirstlane_b32 s6, v0
	v_readfirstlane_b32 s7, v1
	s_delay_alu instid0(VALU_DEP_1) | instskip(NEXT) | instid1(SALU_CYCLE_1)
	s_and_b64 s[6:7], s[6:7], s[4:5]
	s_mul_i32 s7, s7, 24
	s_mul_hi_u32 s13, s6, 24
	s_mul_i32 s6, s6, 24
	s_add_i32 s13, s13, s7
	v_add_co_u32 v10, vcc_lo, v22, s6
	v_add_co_ci_u32_e32 v11, vcc_lo, s13, v23, vcc_lo
	s_mov_b32 s6, exec_lo
	global_store_b64 v[10:11], v[14:15], off
	s_waitcnt_vscnt null, 0x0
	global_atomic_cmpswap_b64 v[2:3], v7, v[12:15], s[2:3] offset:32 glc
	s_waitcnt vmcnt(0)
	v_cmpx_ne_u64_e64 v[2:3], v[14:15]
	s_cbranch_execz .LBB1_348
; %bb.346:                              ;   in Loop: Header=BB1_280 Depth=1
	s_mov_b32 s7, 0
.LBB1_347:                              ;   Parent Loop BB1_280 Depth=1
                                        ; =>  This Inner Loop Header: Depth=2
	v_dual_mov_b32 v0, s4 :: v_dual_mov_b32 v1, s5
	s_sleep 1
	global_store_b64 v[10:11], v[2:3], off
	s_waitcnt_vscnt null, 0x0
	global_atomic_cmpswap_b64 v[0:1], v7, v[0:3], s[2:3] offset:32 glc
	s_waitcnt vmcnt(0)
	v_cmp_eq_u64_e32 vcc_lo, v[0:1], v[2:3]
	v_dual_mov_b32 v3, v1 :: v_dual_mov_b32 v2, v0
	s_or_b32 s7, vcc_lo, s7
	s_delay_alu instid0(SALU_CYCLE_1)
	s_and_not1_b32 exec_lo, exec_lo, s7
	s_cbranch_execnz .LBB1_347
.LBB1_348:                              ;   in Loop: Header=BB1_280 Depth=1
	s_or_b32 exec_lo, exec_lo, s6
	global_load_b64 v[0:1], v7, s[2:3] offset:16
	s_mov_b32 s7, exec_lo
	s_mov_b32 s6, exec_lo
	v_mbcnt_lo_u32_b32 v2, s7, 0
	s_delay_alu instid0(VALU_DEP_1)
	v_cmpx_eq_u32_e32 0, v2
	s_cbranch_execz .LBB1_350
; %bb.349:                              ;   in Loop: Header=BB1_280 Depth=1
	s_bcnt1_i32_b32 s7, s7
	s_delay_alu instid0(SALU_CYCLE_1)
	v_mov_b32_e32 v6, s7
	s_waitcnt vmcnt(0)
	global_atomic_add_u64 v[0:1], v[6:7], off offset:8
.LBB1_350:                              ;   in Loop: Header=BB1_280 Depth=1
	s_or_b32 exec_lo, exec_lo, s6
	s_waitcnt vmcnt(0)
	global_load_b64 v[2:3], v[0:1], off offset:16
	s_waitcnt vmcnt(0)
	v_cmp_eq_u64_e32 vcc_lo, 0, v[2:3]
	s_cbranch_vccnz .LBB1_352
; %bb.351:                              ;   in Loop: Header=BB1_280 Depth=1
	global_load_b32 v6, v[0:1], off offset:24
	s_waitcnt vmcnt(0)
	v_and_b32_e32 v0, 0xffffff, v6
	s_waitcnt_vscnt null, 0x0
	global_store_b64 v[2:3], v[6:7], off
	v_readfirstlane_b32 m0, v0
	s_sendmsg sendmsg(MSG_INTERRUPT)
.LBB1_352:                              ;   in Loop: Header=BB1_280 Depth=1
	s_or_b32 exec_lo, exec_lo, s1
	v_add_co_u32 v0, vcc_lo, v24, v34
	v_add_co_ci_u32_e32 v1, vcc_lo, 0, v25, vcc_lo
	s_branch .LBB1_356
	.p2align	6
.LBB1_353:                              ;   in Loop: Header=BB1_356 Depth=2
	s_or_b32 exec_lo, exec_lo, s1
	s_delay_alu instid0(VALU_DEP_1) | instskip(NEXT) | instid1(VALU_DEP_1)
	v_readfirstlane_b32 s1, v2
	s_cmp_eq_u32 s1, 0
	s_cbranch_scc1 .LBB1_355
; %bb.354:                              ;   in Loop: Header=BB1_356 Depth=2
	s_sleep 1
	s_cbranch_execnz .LBB1_356
	s_branch .LBB1_358
	.p2align	6
.LBB1_355:                              ;   in Loop: Header=BB1_280 Depth=1
	s_branch .LBB1_358
.LBB1_356:                              ;   Parent Loop BB1_280 Depth=1
                                        ; =>  This Inner Loop Header: Depth=2
	v_mov_b32_e32 v2, 1
	s_and_saveexec_b32 s1, s0
	s_cbranch_execz .LBB1_353
; %bb.357:                              ;   in Loop: Header=BB1_356 Depth=2
	global_load_b32 v2, v[30:31], off offset:20 glc
	s_waitcnt vmcnt(0)
	buffer_gl1_inv
	buffer_gl0_inv
	v_and_b32_e32 v2, 1, v2
	s_branch .LBB1_353
.LBB1_358:                              ;   in Loop: Header=BB1_280 Depth=1
	global_load_b128 v[0:3], v[0:1], off
	s_and_saveexec_b32 s1, s0
	s_cbranch_execz .LBB1_279
; %bb.359:                              ;   in Loop: Header=BB1_280 Depth=1
	s_clause 0x2
	global_load_b64 v[2:3], v7, s[2:3] offset:40
	global_load_b64 v[14:15], v7, s[2:3] offset:24 glc
	global_load_b64 v[12:13], v7, s[2:3]
	s_waitcnt vmcnt(2)
	v_add_co_u32 v6, vcc_lo, v2, 1
	v_add_co_ci_u32_e32 v16, vcc_lo, 0, v3, vcc_lo
	s_delay_alu instid0(VALU_DEP_2) | instskip(NEXT) | instid1(VALU_DEP_2)
	v_add_co_u32 v10, vcc_lo, v6, s4
	v_add_co_ci_u32_e32 v11, vcc_lo, s5, v16, vcc_lo
	s_delay_alu instid0(VALU_DEP_1) | instskip(SKIP_1) | instid1(VALU_DEP_1)
	v_cmp_eq_u64_e32 vcc_lo, 0, v[10:11]
	v_dual_cndmask_b32 v11, v11, v16 :: v_dual_cndmask_b32 v10, v10, v6
	v_and_b32_e32 v3, v11, v3
	s_delay_alu instid0(VALU_DEP_2) | instskip(NEXT) | instid1(VALU_DEP_1)
	v_and_b32_e32 v2, v10, v2
	v_mul_hi_u32 v6, v2, 24
	v_mul_lo_u32 v2, v2, 24
	s_waitcnt vmcnt(0)
	s_delay_alu instid0(VALU_DEP_1) | instskip(SKIP_2) | instid1(VALU_DEP_1)
	v_add_co_u32 v2, vcc_lo, v12, v2
	v_mov_b32_e32 v12, v14
	v_mul_lo_u32 v3, v3, 24
	v_add_nc_u32_e32 v3, v6, v3
	s_delay_alu instid0(VALU_DEP_1)
	v_add_co_ci_u32_e32 v3, vcc_lo, v13, v3, vcc_lo
	v_mov_b32_e32 v13, v15
	global_store_b64 v[2:3], v[14:15], off
	s_waitcnt_vscnt null, 0x0
	global_atomic_cmpswap_b64 v[12:13], v7, v[10:13], s[2:3] offset:24 glc
	s_waitcnt vmcnt(0)
	v_cmp_ne_u64_e32 vcc_lo, v[12:13], v[14:15]
	s_and_b32 exec_lo, exec_lo, vcc_lo
	s_cbranch_execz .LBB1_279
; %bb.360:                              ;   in Loop: Header=BB1_280 Depth=1
	s_mov_b32 s0, 0
.LBB1_361:                              ;   Parent Loop BB1_280 Depth=1
                                        ; =>  This Inner Loop Header: Depth=2
	s_sleep 1
	global_store_b64 v[2:3], v[12:13], off
	s_waitcnt_vscnt null, 0x0
	global_atomic_cmpswap_b64 v[14:15], v7, v[10:13], s[2:3] offset:24 glc
	s_waitcnt vmcnt(0)
	v_cmp_eq_u64_e32 vcc_lo, v[14:15], v[12:13]
	v_dual_mov_b32 v12, v14 :: v_dual_mov_b32 v13, v15
	s_or_b32 s0, vcc_lo, s0
	s_delay_alu instid0(SALU_CYCLE_1)
	s_and_not1_b32 exec_lo, exec_lo, s0
	s_cbranch_execnz .LBB1_361
	s_branch .LBB1_279
.LBB1_362:
	s_or_b32 exec_lo, exec_lo, s11
                                        ; implicit-def: $vgpr34
                                        ; implicit-def: $vgpr35
.LBB1_363:
	s_and_not1_saveexec_b32 s1, s10
	s_cbranch_execz .LBB1_391
; %bb.364:
	v_readfirstlane_b32 s0, v35
	v_mov_b32_e32 v8, 0
	v_mov_b32_e32 v9, 0
	s_delay_alu instid0(VALU_DEP_3) | instskip(NEXT) | instid1(VALU_DEP_1)
	v_cmp_eq_u32_e64 s0, s0, v35
	s_and_saveexec_b32 s4, s0
	s_cbranch_execz .LBB1_370
; %bb.365:
	s_waitcnt vmcnt(0)
	v_mov_b32_e32 v2, 0
	s_mov_b32 s5, exec_lo
	global_load_b64 v[5:6], v2, s[2:3] offset:24 glc
	s_waitcnt vmcnt(0)
	buffer_gl1_inv
	buffer_gl0_inv
	s_clause 0x1
	global_load_b64 v[3:4], v2, s[2:3] offset:40
	global_load_b64 v[7:8], v2, s[2:3]
	s_waitcnt vmcnt(1)
	v_and_b32_e32 v3, v3, v5
	v_and_b32_e32 v4, v4, v6
	s_delay_alu instid0(VALU_DEP_2) | instskip(NEXT) | instid1(VALU_DEP_2)
	v_mul_hi_u32 v9, v3, 24
	v_mul_lo_u32 v4, v4, 24
	v_mul_lo_u32 v3, v3, 24
	s_delay_alu instid0(VALU_DEP_2) | instskip(SKIP_1) | instid1(VALU_DEP_2)
	v_add_nc_u32_e32 v4, v9, v4
	s_waitcnt vmcnt(0)
	v_add_co_u32 v3, vcc_lo, v7, v3
	s_delay_alu instid0(VALU_DEP_2)
	v_add_co_ci_u32_e32 v4, vcc_lo, v8, v4, vcc_lo
	global_load_b64 v[3:4], v[3:4], off glc
	s_waitcnt vmcnt(0)
	global_atomic_cmpswap_b64 v[8:9], v2, v[3:6], s[2:3] offset:24 glc
	s_waitcnt vmcnt(0)
	buffer_gl1_inv
	buffer_gl0_inv
	v_cmpx_ne_u64_e64 v[8:9], v[5:6]
	s_cbranch_execz .LBB1_369
; %bb.366:
	s_mov_b32 s6, 0
	.p2align	6
.LBB1_367:                              ; =>This Inner Loop Header: Depth=1
	s_sleep 1
	s_clause 0x1
	global_load_b64 v[3:4], v2, s[2:3] offset:40
	global_load_b64 v[10:11], v2, s[2:3]
	v_dual_mov_b32 v5, v8 :: v_dual_mov_b32 v6, v9
	s_waitcnt vmcnt(1)
	s_delay_alu instid0(VALU_DEP_1) | instskip(NEXT) | instid1(VALU_DEP_2)
	v_and_b32_e32 v3, v3, v5
	v_and_b32_e32 v4, v4, v6
	s_waitcnt vmcnt(0)
	s_delay_alu instid0(VALU_DEP_2) | instskip(NEXT) | instid1(VALU_DEP_1)
	v_mad_u64_u32 v[7:8], null, v3, 24, v[10:11]
	v_mov_b32_e32 v3, v8
	s_delay_alu instid0(VALU_DEP_1)
	v_mad_u64_u32 v[8:9], null, v4, 24, v[3:4]
	global_load_b64 v[3:4], v[7:8], off glc
	s_waitcnt vmcnt(0)
	global_atomic_cmpswap_b64 v[8:9], v2, v[3:6], s[2:3] offset:24 glc
	s_waitcnt vmcnt(0)
	buffer_gl1_inv
	buffer_gl0_inv
	v_cmp_eq_u64_e32 vcc_lo, v[8:9], v[5:6]
	s_or_b32 s6, vcc_lo, s6
	s_delay_alu instid0(SALU_CYCLE_1)
	s_and_not1_b32 exec_lo, exec_lo, s6
	s_cbranch_execnz .LBB1_367
; %bb.368:
	s_or_b32 exec_lo, exec_lo, s6
.LBB1_369:
	s_delay_alu instid0(SALU_CYCLE_1)
	s_or_b32 exec_lo, exec_lo, s5
.LBB1_370:
	s_delay_alu instid0(SALU_CYCLE_1)
	s_or_b32 exec_lo, exec_lo, s4
	s_waitcnt vmcnt(0)
	v_mov_b32_e32 v2, 0
	v_readfirstlane_b32 s4, v8
	v_readfirstlane_b32 s5, v9
	s_mov_b32 s10, exec_lo
	s_clause 0x1
	global_load_b64 v[10:11], v2, s[2:3] offset:40
	global_load_b128 v[4:7], v2, s[2:3]
	s_waitcnt vmcnt(1)
	v_readfirstlane_b32 s6, v10
	v_readfirstlane_b32 s7, v11
	s_delay_alu instid0(VALU_DEP_1) | instskip(NEXT) | instid1(SALU_CYCLE_1)
	s_and_b64 s[6:7], s[4:5], s[6:7]
	s_mul_i32 s11, s7, 24
	s_mul_hi_u32 s12, s6, 24
	s_mul_i32 s13, s6, 24
	s_add_i32 s12, s12, s11
	s_waitcnt vmcnt(0)
	v_add_co_u32 v8, vcc_lo, v4, s13
	v_add_co_ci_u32_e32 v9, vcc_lo, s12, v5, vcc_lo
	s_and_saveexec_b32 s11, s0
	s_cbranch_execz .LBB1_372
; %bb.371:
	v_dual_mov_b32 v10, s10 :: v_dual_mov_b32 v11, v2
	v_dual_mov_b32 v12, 2 :: v_dual_mov_b32 v13, 1
	global_store_b128 v[8:9], v[10:13], off offset:8
.LBB1_372:
	s_or_b32 exec_lo, exec_lo, s11
	s_lshl_b64 s[6:7], s[6:7], 12
	s_mov_b32 s12, 0
	v_add_co_u32 v6, vcc_lo, v6, s6
	v_add_co_ci_u32_e32 v7, vcc_lo, s7, v7, vcc_lo
	s_mov_b32 s13, s12
	s_delay_alu instid0(VALU_DEP_2)
	v_readfirstlane_b32 s6, v6
	v_add_co_u32 v6, vcc_lo, v6, v34
	s_mov_b32 s14, s12
	s_mov_b32 s15, s12
	v_and_or_b32 v0, 0xffffff1f, v0, 32
	v_dual_mov_b32 v3, v2 :: v_dual_mov_b32 v10, s12
	v_readfirstlane_b32 s7, v7
	v_add_co_ci_u32_e32 v7, vcc_lo, 0, v7, vcc_lo
	v_dual_mov_b32 v11, s13 :: v_dual_mov_b32 v12, s14
	v_mov_b32_e32 v13, s15
	s_clause 0x3
	global_store_b128 v34, v[0:3], s[6:7]
	global_store_b128 v34, v[10:13], s[6:7] offset:16
	global_store_b128 v34, v[10:13], s[6:7] offset:32
	;; [unrolled: 1-line block ×3, first 2 shown]
	s_and_saveexec_b32 s6, s0
	s_cbranch_execz .LBB1_380
; %bb.373:
	v_dual_mov_b32 v10, 0 :: v_dual_mov_b32 v11, s4
	v_mov_b32_e32 v12, s5
	s_clause 0x1
	global_load_b64 v[13:14], v10, s[2:3] offset:32 glc
	global_load_b64 v[0:1], v10, s[2:3] offset:40
	s_waitcnt vmcnt(0)
	v_readfirstlane_b32 s10, v0
	v_readfirstlane_b32 s11, v1
	s_delay_alu instid0(VALU_DEP_1) | instskip(NEXT) | instid1(SALU_CYCLE_1)
	s_and_b64 s[10:11], s[10:11], s[4:5]
	s_mul_i32 s7, s11, 24
	s_mul_hi_u32 s11, s10, 24
	s_mul_i32 s10, s10, 24
	s_add_i32 s11, s11, s7
	v_add_co_u32 v4, vcc_lo, v4, s10
	v_add_co_ci_u32_e32 v5, vcc_lo, s11, v5, vcc_lo
	s_mov_b32 s7, exec_lo
	global_store_b64 v[4:5], v[13:14], off
	s_waitcnt_vscnt null, 0x0
	global_atomic_cmpswap_b64 v[2:3], v10, v[11:14], s[2:3] offset:32 glc
	s_waitcnt vmcnt(0)
	v_cmpx_ne_u64_e64 v[2:3], v[13:14]
	s_cbranch_execz .LBB1_376
; %bb.374:
	s_mov_b32 s10, 0
.LBB1_375:                              ; =>This Inner Loop Header: Depth=1
	v_dual_mov_b32 v0, s4 :: v_dual_mov_b32 v1, s5
	s_sleep 1
	global_store_b64 v[4:5], v[2:3], off
	s_waitcnt_vscnt null, 0x0
	global_atomic_cmpswap_b64 v[0:1], v10, v[0:3], s[2:3] offset:32 glc
	s_waitcnt vmcnt(0)
	v_cmp_eq_u64_e32 vcc_lo, v[0:1], v[2:3]
	v_dual_mov_b32 v3, v1 :: v_dual_mov_b32 v2, v0
	s_or_b32 s10, vcc_lo, s10
	s_delay_alu instid0(SALU_CYCLE_1)
	s_and_not1_b32 exec_lo, exec_lo, s10
	s_cbranch_execnz .LBB1_375
.LBB1_376:
	s_or_b32 exec_lo, exec_lo, s7
	v_mov_b32_e32 v3, 0
	s_mov_b32 s10, exec_lo
	s_mov_b32 s7, exec_lo
	v_mbcnt_lo_u32_b32 v2, s10, 0
	global_load_b64 v[0:1], v3, s[2:3] offset:16
	v_cmpx_eq_u32_e32 0, v2
	s_cbranch_execz .LBB1_378
; %bb.377:
	s_bcnt1_i32_b32 s10, s10
	s_delay_alu instid0(SALU_CYCLE_1)
	v_mov_b32_e32 v2, s10
	s_waitcnt vmcnt(0)
	global_atomic_add_u64 v[0:1], v[2:3], off offset:8
.LBB1_378:
	s_or_b32 exec_lo, exec_lo, s7
	s_waitcnt vmcnt(0)
	global_load_b64 v[2:3], v[0:1], off offset:16
	s_waitcnt vmcnt(0)
	v_cmp_eq_u64_e32 vcc_lo, 0, v[2:3]
	s_cbranch_vccnz .LBB1_380
; %bb.379:
	global_load_b32 v0, v[0:1], off offset:24
	s_waitcnt vmcnt(0)
	v_dual_mov_b32 v1, 0 :: v_dual_and_b32 v4, 0xffffff, v0
	s_waitcnt_vscnt null, 0x0
	global_store_b64 v[2:3], v[0:1], off
	v_readfirstlane_b32 m0, v4
	s_sendmsg sendmsg(MSG_INTERRUPT)
.LBB1_380:
	s_or_b32 exec_lo, exec_lo, s6
	s_branch .LBB1_384
	.p2align	6
.LBB1_381:                              ;   in Loop: Header=BB1_384 Depth=1
	s_or_b32 exec_lo, exec_lo, s6
	s_delay_alu instid0(VALU_DEP_1) | instskip(NEXT) | instid1(VALU_DEP_1)
	v_readfirstlane_b32 s6, v0
	s_cmp_eq_u32 s6, 0
	s_cbranch_scc1 .LBB1_383
; %bb.382:                              ;   in Loop: Header=BB1_384 Depth=1
	s_sleep 1
	s_cbranch_execnz .LBB1_384
	s_branch .LBB1_386
	.p2align	6
.LBB1_383:
	s_branch .LBB1_386
.LBB1_384:                              ; =>This Inner Loop Header: Depth=1
	v_mov_b32_e32 v0, 1
	s_and_saveexec_b32 s6, s0
	s_cbranch_execz .LBB1_381
; %bb.385:                              ;   in Loop: Header=BB1_384 Depth=1
	global_load_b32 v0, v[8:9], off offset:20 glc
	s_waitcnt vmcnt(0)
	buffer_gl1_inv
	buffer_gl0_inv
	v_and_b32_e32 v0, 1, v0
	s_branch .LBB1_381
.LBB1_386:
	global_load_b64 v[0:1], v[6:7], off
	s_and_saveexec_b32 s6, s0
	s_cbranch_execz .LBB1_390
; %bb.387:
	v_mov_b32_e32 v8, 0
	s_clause 0x2
	global_load_b64 v[4:5], v8, s[2:3] offset:40
	global_load_b64 v[9:10], v8, s[2:3] offset:24 glc
	global_load_b64 v[6:7], v8, s[2:3]
	s_waitcnt vmcnt(2)
	v_add_co_u32 v11, vcc_lo, v4, 1
	v_add_co_ci_u32_e32 v12, vcc_lo, 0, v5, vcc_lo
	s_delay_alu instid0(VALU_DEP_2) | instskip(NEXT) | instid1(VALU_DEP_2)
	v_add_co_u32 v2, vcc_lo, v11, s4
	v_add_co_ci_u32_e32 v3, vcc_lo, s5, v12, vcc_lo
	s_delay_alu instid0(VALU_DEP_1) | instskip(SKIP_1) | instid1(VALU_DEP_1)
	v_cmp_eq_u64_e32 vcc_lo, 0, v[2:3]
	v_dual_cndmask_b32 v3, v3, v12 :: v_dual_cndmask_b32 v2, v2, v11
	v_and_b32_e32 v5, v3, v5
	s_delay_alu instid0(VALU_DEP_2) | instskip(NEXT) | instid1(VALU_DEP_2)
	v_and_b32_e32 v4, v2, v4
	v_mul_lo_u32 v5, v5, 24
	s_delay_alu instid0(VALU_DEP_2) | instskip(SKIP_1) | instid1(VALU_DEP_2)
	v_mul_hi_u32 v11, v4, 24
	v_mul_lo_u32 v4, v4, 24
	v_add_nc_u32_e32 v5, v11, v5
	s_waitcnt vmcnt(0)
	s_delay_alu instid0(VALU_DEP_2) | instskip(SKIP_1) | instid1(VALU_DEP_3)
	v_add_co_u32 v6, vcc_lo, v6, v4
	v_mov_b32_e32 v4, v9
	v_add_co_ci_u32_e32 v7, vcc_lo, v7, v5, vcc_lo
	v_mov_b32_e32 v5, v10
	global_store_b64 v[6:7], v[9:10], off
	s_waitcnt_vscnt null, 0x0
	global_atomic_cmpswap_b64 v[4:5], v8, v[2:5], s[2:3] offset:24 glc
	s_waitcnt vmcnt(0)
	v_cmp_ne_u64_e32 vcc_lo, v[4:5], v[9:10]
	s_and_b32 exec_lo, exec_lo, vcc_lo
	s_cbranch_execz .LBB1_390
; %bb.388:
	s_mov_b32 s0, 0
.LBB1_389:                              ; =>This Inner Loop Header: Depth=1
	s_sleep 1
	global_store_b64 v[6:7], v[4:5], off
	s_waitcnt_vscnt null, 0x0
	global_atomic_cmpswap_b64 v[9:10], v8, v[2:5], s[2:3] offset:24 glc
	s_waitcnt vmcnt(0)
	v_cmp_eq_u64_e32 vcc_lo, v[9:10], v[4:5]
	v_dual_mov_b32 v4, v9 :: v_dual_mov_b32 v5, v10
	s_or_b32 s0, vcc_lo, s0
	s_delay_alu instid0(SALU_CYCLE_1)
	s_and_not1_b32 exec_lo, exec_lo, s0
	s_cbranch_execnz .LBB1_389
.LBB1_390:
	s_or_b32 exec_lo, exec_lo, s6
.LBB1_391:
	s_delay_alu instid0(SALU_CYCLE_1)
	s_or_b32 exec_lo, exec_lo, s1
	s_getpc_b64 s[0:1]
	s_add_u32 s0, s0, .str.1@rel32@lo+4
	s_addc_u32 s1, s1, .str.1@rel32@hi+12
	s_getpc_b64 s[2:3]
	s_add_u32 s2, s2, .str.1@rel32@lo+32
	s_addc_u32 s3, s3, .str.1@rel32@hi+40
	s_sub_i32 s4, s2, s0
	s_getpc_b64 s[2:3]
	s_add_u32 s2, s2, __ockl_fprintf_append_string_n@rel32@lo+4
	s_addc_u32 s3, s3, __ockl_fprintf_append_string_n@rel32@hi+12
	s_ashr_i32 s5, s4, 31
	s_waitcnt vmcnt(0)
	v_dual_mov_b32 v2, s0 :: v_dual_mov_b32 v3, s1
	v_dual_mov_b32 v4, s4 :: v_dual_mov_b32 v5, s5
	v_mov_b32_e32 v6, 1
	s_swappc_b64 s[30:31], s[2:3]
	s_trap 2
	s_sendmsg_rtn_b32 s0, sendmsg(MSG_RTN_GET_DOORBELL)
	s_mov_b32 ttmp2, m0
	s_waitcnt lgkmcnt(0)
	s_and_b32 s0, s0, 0x3ff
	s_delay_alu instid0(SALU_CYCLE_1) | instskip(NEXT) | instid1(SALU_CYCLE_1)
	s_bitset1_b32 s0, 10
	s_mov_b32 m0, s0
	s_sendmsg sendmsg(MSG_INTERRUPT)
	s_mov_b32 m0, ttmp2
.LBB1_392:                              ; =>This Inner Loop Header: Depth=1
	s_sethalt 5
	s_branch .LBB1_392
.Lfunc_end1:
	.size	__assert_fail, .Lfunc_end1-__assert_fail
                                        ; -- End function
	.section	.AMDGPU.csdata,"",@progbits
; Function info:
; codeLenInByte = 16148
; NumSgprs: 36
; NumVgprs: 41
; ScratchSize: 64
; MemoryBound: 0
	.text
	.p2align	2                               ; -- Begin function _ZN12_GLOBAL__N_17runRingIh14FuncSumPostDivIhE11ProtoSimpleILi2ELi2ELi0ELi1ELi0ELi0EELi0ELi0ELi1ELi0EEEviiP15ncclDevWorkColl
	.type	_ZN12_GLOBAL__N_17runRingIh14FuncSumPostDivIhE11ProtoSimpleILi2ELi2ELi0ELi1ELi0ELi0EELi0ELi0ELi1ELi0EEEviiP15ncclDevWorkColl,@function
_ZN12_GLOBAL__N_17runRingIh14FuncSumPostDivIhE11ProtoSimpleILi2ELi2ELi0ELi1ELi0ELi0EELi0ELi0ELi1ELi0EEEviiP15ncclDevWorkColl: ; @_ZN12_GLOBAL__N_17runRingIh14FuncSumPostDivIhE11ProtoSimpleILi2ELi2ELi0ELi1ELi0ELi0EELi0ELi0ELi1ELi0EEEviiP15ncclDevWorkColl
; %bb.0:
	s_waitcnt vmcnt(0) expcnt(0) lgkmcnt(0)
	s_mov_b32 s0, s33
	s_mov_b32 s33, s32
	s_or_saveexec_b32 s1, -1
	s_clause 0x1
	scratch_store_b32 off, v77, s33 offset:84
	; meta instruction
	scratch_store_b32 off, v78, s33 offset:88
	s_mov_b32 exec_lo, s1
	v_writelane_b32 v77, s0, 14
	s_addk_i32 s32, 0x60
	s_clause 0x14
	scratch_store_b32 off, v40, s33 offset:80
	; meta instruction
	scratch_store_b32 off, v41, s33 offset:76
	; meta instruction
	;; [unrolled: 2-line block ×20, first 2 shown]
	scratch_store_b32 off, v76, s33
	v_writelane_b32 v77, s34, 0
	v_writelane_b32 v77, s35, 1
	;; [unrolled: 1-line block ×14, first 2 shown]
	s_cbranch_execnz .LBB2_1406
; %bb.1:
	flat_load_b32 v7, v[2:3]
	ds_load_b32 v6, v0
	s_mov_b32 s0, exec_lo
                                        ; implicit-def: $vgpr32_vgpr33
                                        ; implicit-def: $vgpr14_vgpr15
                                        ; implicit-def: $vgpr4_vgpr5
	s_waitcnt lgkmcnt(0)
	v_readfirstlane_b32 s23, v6
	s_waitcnt vmcnt(0)
	v_and_b32_e32 v8, 0xff, v7
	s_delay_alu instid0(VALU_DEP_1)
	v_cmpx_ne_u32_e64 v8, v6
	s_xor_b32 s0, exec_lo, s0
	s_cbranch_execnz .LBB2_1408
; %bb.2:
	s_and_not1_saveexec_b32 s0, s0
	s_cbranch_execnz .LBB2_1413
.LBB2_3:
	s_or_b32 exec_lo, exec_lo, s0
	s_cbranch_execnz .LBB2_1414
.LBB2_4:
	ds_load_b64 v[6:7], v0
	s_mov_b32 s1, exec_lo
	s_waitcnt lgkmcnt(0)
	v_cmp_ne_u32_e32 vcc_lo, -1, v6
	v_cndmask_b32_e64 v36, 0, 1, vcc_lo
	v_cmp_ne_u32_e32 vcc_lo, -1, v7
	s_delay_alu instid0(VALU_DEP_2) | instskip(NEXT) | instid1(VALU_DEP_1)
	v_add_co_ci_u32_e64 v8, s0, 0, v36, vcc_lo
	v_lshlrev_b32_e32 v6, 1, v8
	s_delay_alu instid0(VALU_DEP_1)
	v_cmpx_le_i32_e64 v6, v1
	s_xor_b32 s18, exec_lo, s1
	s_cbranch_execz .LBB2_1657
; %bb.5:
	s_clause 0x3
	flat_load_b64 v[33:34], v[2:3] offset:104
	flat_load_b128 v[10:13], v[2:3] offset:16
	flat_load_u16 v7, v[2:3] offset:8
	flat_load_b32 v6, v[2:3] offset:4
	s_cbranch_execnz .LBB2_1416
; %bb.6:
	s_load_b32 s0, s[8:9], 0x0
	v_dual_mov_b32 v9, 0 :: v_dual_mov_b32 v30, 4
	s_waitcnt lgkmcnt(0)
	s_cmp_lt_u32 s12, s0
	s_cselect_b32 s0, 12, 18
	s_delay_alu instid0(SALU_CYCLE_1)
	s_add_u32 s0, s8, s0
	s_addc_u32 s1, s9, 0
	global_load_u16 v35, v9, s[0:1]
	ds_load_b32 v9, v0
	s_mov_b32 s1, exec_lo
	s_waitcnt lgkmcnt(0)
	v_readfirstlane_b32 s5, v9
	v_cmpx_ge_i32_e64 v0, v36
	s_cbranch_execz .LBB2_16
; %bb.7:
	v_cmp_le_u32_e64 s0, v8, v0
                                        ; implicit-def: $vgpr30
	s_delay_alu instid0(VALU_DEP_1) | instskip(NEXT) | instid1(SALU_CYCLE_1)
	s_and_saveexec_b32 s2, s0
	s_xor_b32 s0, exec_lo, s2
	s_cbranch_execz .LBB2_13
; %bb.8:
	v_cndmask_b32_e64 v9, 0, 1, vcc_lo
	s_mov_b32 s2, exec_lo
                                        ; implicit-def: $sgpr3
	s_delay_alu instid0(VALU_DEP_1) | instskip(NEXT) | instid1(VALU_DEP_1)
	v_sub_nc_u32_e32 v9, v1, v9
	v_cmpx_ge_u32_e64 v0, v9
	s_xor_b32 s2, exec_lo, s2
; %bb.9:
	s_mov_b32 s3, 16
                                        ; implicit-def: $vgpr8
; %bb.10:
	s_or_saveexec_b32 s2, s2
	v_mov_b32_e32 v30, s3
	s_xor_b32 exec_lo, exec_lo, s2
; %bb.11:
	v_sub_nc_u32_e32 v8, v1, v8
	s_delay_alu instid0(VALU_DEP_1) | instskip(SKIP_1) | instid1(VALU_DEP_1)
	v_cmp_ge_i32_e32 vcc_lo, v0, v8
	v_cndmask_b32_e64 v8, 0, 1, vcc_lo
	v_lshlrev_b32_e32 v30, 5, v8
; %bb.12:
	s_or_b32 exec_lo, exec_lo, s2
.LBB2_13:
	s_and_not1_saveexec_b32 s0, s0
; %bb.14:
	v_mov_b32_e32 v30, 8
; %bb.15:
	s_or_b32 exec_lo, exec_lo, s0
.LBB2_16:
	s_delay_alu instid0(SALU_CYCLE_1) | instskip(NEXT) | instid1(VALU_DEP_1)
	s_or_b32 exec_lo, exec_lo, s1
	v_and_b32_e32 v8, 36, v30
	s_delay_alu instid0(VALU_DEP_1)
	v_cmp_ne_u32_e32 vcc_lo, 0, v8
	v_mov_b32_e32 v8, -1
	s_and_saveexec_b32 s0, vcc_lo
	s_cbranch_execz .LBB2_19
; %bb.17:
	s_cbranch_execnz .LBB2_1418
; %bb.18:
	ds_load_b32 v8, v0
.LBB2_19:
	s_or_b32 exec_lo, exec_lo, s0
	v_and_b32_e32 v9, 24, v30
	s_mov_b32 s1, exec_lo
	s_delay_alu instid0(VALU_DEP_1)
	v_cmpx_ne_u32_e32 0, v9
	s_cbranch_execz .LBB2_22
; %bb.20:
	s_cbranch_execnz .LBB2_1420
; %bb.21:
	s_waitcnt lgkmcnt(0)
	ds_load_b32 v8, v0
.LBB2_22:
	s_or_b32 exec_lo, exec_lo, s1
	s_waitcnt vmcnt(1)
	v_lshrrev_b64 v[6:7], 31, v[6:7]
	v_mov_b32_e32 v18, 0
	v_mov_b32_e32 v19, 0
                                        ; implicit-def: $vgpr16_vgpr17
                                        ; implicit-def: $vgpr68
                                        ; implicit-def: $vgpr22_vgpr23
                                        ; implicit-def: $vgpr24_vgpr25
                                        ; implicit-def: $vgpr28_vgpr29
                                        ; implicit-def: $vgpr20_vgpr21
	s_delay_alu instid0(VALU_DEP_2) | instskip(NEXT) | instid1(VALU_DEP_2)
	v_dual_mov_b32 v6, v18 :: v_dual_and_b32 v37, 3, v6
	v_mov_b32_e32 v7, v19
	s_and_saveexec_b32 s0, vcc_lo
	s_cbranch_execz .LBB2_35
; %bb.23:
	s_cbranch_execnz .LBB2_1422
; %bb.24:
	ds_load_b64 v[6:7], v0
	s_waitcnt lgkmcnt(1)
	v_ashrrev_i32_e32 v9, 31, v8
	s_mov_b32 s1, exec_lo
	s_delay_alu instid0(VALU_DEP_1) | instskip(SKIP_2) | instid1(VALU_DEP_2)
	v_lshlrev_b64 v[16:17], 3, v[8:9]
	v_and_b32_e32 v9, 0xffff, v37
	s_waitcnt lgkmcnt(0)
	v_add_co_u32 v6, vcc_lo, v6, v16
	s_delay_alu instid0(VALU_DEP_3)
	v_add_co_ci_u32_e32 v7, vcc_lo, v7, v17, vcc_lo
	flat_load_b64 v[6:7], v[6:7]
	s_waitcnt vmcnt(0) lgkmcnt(0)
	v_mad_u64_u32 v[16:17], null, 0xa8, v9, v[6:7]
	flat_load_b32 v6, v[16:17] offset:640
	v_add_co_u32 v18, vcc_lo, 0x1f8, v16
	v_add_co_ci_u32_e32 v19, vcc_lo, 0, v17, vcc_lo
                                        ; implicit-def: $vgpr16_vgpr17
	s_waitcnt vmcnt(0) lgkmcnt(0)
	v_cmpx_eq_u32_e32 1, v6
	s_cbranch_execz .LBB2_27
; %bb.25:
	flat_load_b64 v[16:17], v[18:19] offset:144
	s_waitcnt vmcnt(0) lgkmcnt(0)
	flat_load_b64 v[6:7], v[16:17]
	s_cbranch_execnz .LBB2_1430
; %bb.26:
	s_waitcnt vmcnt(0) lgkmcnt(0)
	ds_store_b64 v0, v[6:7]
	flat_load_b64 v[6:7], v[16:17] offset:8
	v_or_b32_e32 v30, 0x2000, v30
	s_waitcnt vmcnt(0) lgkmcnt(0)
	ds_store_b64 v0, v[6:7]
	flat_load_b64 v[6:7], v[16:17] offset:16
	s_waitcnt vmcnt(0) lgkmcnt(0)
	ds_store_b64 v0, v[6:7]
.LBB2_27:
	s_or_b32 exec_lo, exec_lo, s1
	flat_load_b64 v[6:7], v[18:19] offset:104
	v_and_b32_e32 v9, 32, v30
	s_mov_b32 s1, exec_lo
                                        ; implicit-def: $vgpr20_vgpr21
	s_waitcnt vmcnt(0) lgkmcnt(0)
	v_add_co_u32 v6, vcc_lo, v6, 3
	v_add_co_ci_u32_e32 v23, vcc_lo, 0, v7, vcc_lo
	s_delay_alu instid0(VALU_DEP_2)
	v_and_b32_e32 v22, -4, v6
	v_cmpx_ne_u32_e32 0, v9
	s_cbranch_execz .LBB2_29
; %bb.28:
	flat_load_b64 v[20:21], v[18:19] offset:56
	s_waitcnt vmcnt(0) lgkmcnt(0)
	s_waitcnt_vscnt null, 0x0
	flat_store_b64 v[20:21], v[22:23]
.LBB2_29:
	s_or_b32 exec_lo, exec_lo, s1
	v_dual_mov_b32 v6, 0 :: v_dual_and_b32 v9, 4, v30
	v_mov_b32_e32 v7, 0
	s_mov_b32 s1, exec_lo
                                        ; implicit-def: $vgpr68
                                        ; implicit-def: $vgpr24_vgpr25
                                        ; implicit-def: $vgpr28_vgpr29
	s_delay_alu instid0(VALU_DEP_2)
	v_cmpx_ne_u32_e32 0, v9
	s_cbranch_execz .LBB2_34
; %bb.30:
	v_and_b32_e32 v6, 0x800, v30
	s_mov_b32 s2, exec_lo
	s_delay_alu instid0(VALU_DEP_1)
	v_cmpx_eq_u32_e32 0, v6
	s_cbranch_execz .LBB2_33
; %bb.31:
	s_cbranch_execnz .LBB2_1432
; %bb.32:
	ds_store_b64 v0, v[18:19]
.LBB2_33:
	s_or_b32 exec_lo, exec_lo, s2
	flat_load_b64 v[20:21], v[18:19] offset:48
	v_or_b32_e32 v9, 0x100, v30
	s_waitcnt vmcnt(0) lgkmcnt(0)
	flat_load_b64 v[28:29], v[20:21] glc
	s_clause 0x2
	flat_load_b64 v[6:7], v[18:19] offset:96
	flat_load_b32 v68, v[18:19] offset:72
	flat_load_b64 v[24:25], v[18:19] offset:16
	s_waitcnt vmcnt(2) lgkmcnt(2)
	v_cmp_eq_u64_e32 vcc_lo, 0, v[6:7]
	v_cndmask_b32_e32 v30, v9, v30, vcc_lo
.LBB2_34:
	s_or_b32 exec_lo, exec_lo, s1
.LBB2_35:
	s_delay_alu instid0(SALU_CYCLE_1) | instskip(NEXT) | instid1(VALU_DEP_1)
	s_or_b32 exec_lo, exec_lo, s0
	v_and_b32_e32 v9, 24, v30
	s_mov_b32 s0, exec_lo
                                        ; implicit-def: $vgpr26_vgpr27
	s_delay_alu instid0(VALU_DEP_1)
	v_cmpx_ne_u32_e32 0, v9
	s_cbranch_execz .LBB2_45
; %bb.36:
	s_cbranch_execnz .LBB2_1424
; %bb.37:
	ds_load_b64 v[6:7], v0
	s_waitcnt lgkmcnt(1)
	v_ashrrev_i32_e32 v9, 31, v8
	v_or_b32_e32 v22, 0x100, v30
	s_mov_b32 s1, exec_lo
                                        ; implicit-def: $vgpr26_vgpr27
	s_delay_alu instid0(VALU_DEP_2) | instskip(SKIP_1) | instid1(VALU_DEP_1)
	v_lshlrev_b64 v[8:9], 3, v[8:9]
	s_waitcnt lgkmcnt(0)
	v_add_co_u32 v6, vcc_lo, v6, v8
	s_delay_alu instid0(VALU_DEP_2)
	v_add_co_ci_u32_e32 v7, vcc_lo, v7, v9, vcc_lo
	v_and_b32_e32 v8, 0xffff, v37
	flat_load_b64 v[6:7], v[6:7]
	s_waitcnt vmcnt(0) lgkmcnt(0)
	v_mad_u64_u32 v[18:19], null, 0xa8, v8, v[6:7]
	flat_load_b128 v[6:9], v[18:19] offset:96
	s_waitcnt vmcnt(0) lgkmcnt(0)
	v_cmp_eq_u64_e32 vcc_lo, 0, v[6:7]
	v_cndmask_b32_e32 v30, v22, v30, vcc_lo
	s_delay_alu instid0(VALU_DEP_1) | instskip(NEXT) | instid1(VALU_DEP_1)
	v_and_b32_e32 v22, 16, v30
	v_cmpx_ne_u32_e32 0, v22
; %bb.38:
	s_clause 0x2
	flat_load_b64 v[26:27], v[18:19] offset:120
	flat_load_b64 v[20:21], v[18:19] offset:48
	flat_load_b64 v[24:25], v[18:19] offset:16
; %bb.39:
	s_or_b32 exec_lo, exec_lo, s1
	v_and_b32_e32 v22, 8, v30
	s_mov_b32 s1, exec_lo
	s_delay_alu instid0(VALU_DEP_1)
	v_cmpx_ne_u32_e32 0, v22
	s_cbranch_execz .LBB2_44
; %bb.40:
	s_waitcnt vmcnt(1) lgkmcnt(1)
	v_and_b32_e32 v20, 0x800, v30
	s_mov_b32 s2, exec_lo
	s_delay_alu instid0(VALU_DEP_1)
	v_cmpx_eq_u32_e32 0, v20
	s_cbranch_execz .LBB2_43
; %bb.41:
	s_cbranch_execnz .LBB2_1434
; %bb.42:
	ds_store_b64 v0, v[18:19]
.LBB2_43:
	s_or_b32 exec_lo, exec_lo, s2
	flat_load_b64 v[20:21], v[18:19] offset:56
	s_waitcnt vmcnt(0) lgkmcnt(0)
	flat_load_b64 v[28:29], v[20:21] glc
	s_clause 0x1
	flat_load_b32 v68, v[18:19] offset:72
	flat_load_b64 v[24:25], v[18:19] offset:16
.LBB2_44:
	s_or_b32 exec_lo, exec_lo, s1
	v_add_co_u32 v8, vcc_lo, v8, 3
	v_add_co_ci_u32_e32 v23, vcc_lo, 0, v9, vcc_lo
	s_delay_alu instid0(VALU_DEP_2)
	v_and_b32_e32 v22, -4, v8
.LBB2_45:
	s_or_b32 exec_lo, exec_lo, s0
	v_cmp_eq_u32_e64 s0, 0, v0
	s_delay_alu instid0(VALU_DEP_1)
	s_and_saveexec_b32 s1, s0
	s_cbranch_execz .LBB2_48
; %bb.46:
	s_waitcnt lgkmcnt(0)
	flat_load_b64 v[8:9], v[2:3] offset:32
	ds_store_2addr_b64 v0, v[12:13], v[10:11] offset1:1
	s_cbranch_execnz .LBB2_1426
; %bb.47:
	s_waitcnt vmcnt(0) lgkmcnt(1)
	ds_store_b64 v0, v[8:9]
	ds_store_b64 v0, v[33:34]
.LBB2_48:
	s_or_b32 exec_lo, exec_lo, s1
	s_waitcnt vmcnt(0)
	v_dual_mov_b32 v12, 0 :: v_dual_and_b32 v69, 0xffff, v35
	v_mov_b32_e32 v13, 0
	s_mov_b32 s24, exec_lo
	v_cmpx_lt_i64_e32 0, v[4:5]
	s_cbranch_execz .LBB2_1400
; %bb.49:
	s_waitcnt lgkmcnt(0)
	flat_load_b32 v8, v[2:3] offset:4
	v_dual_mov_b32 v3, 0 :: v_dual_and_b32 v2, 31, v31
	s_ashr_i32 s28, s23, 31
	s_add_u32 s30, s23, -1
	s_addc_u32 s34, s28, -1
	s_not_b32 s2, s23
	v_cmp_ge_i32_e32 vcc_lo, v0, v1
	v_cmp_eq_u32_e64 s1, 0, v2
	s_cmp_gt_i32 s23, 0
	s_mov_b32 s31, 0
	s_cselect_b32 s6, s2, -1
	s_cbranch_execnz .LBB2_1428
; %bb.50:
	v_ashrrev_i32_e32 v9, 31, v0
	s_add_i32 s35, s23, s23
	s_ashr_i32 s7, s5, 31
	v_lshrrev_b32_e32 v71, 5, v1
	s_add_i32 s21, s6, s35
	v_lshrrev_b32_e32 v9, 27, v9
	s_lshr_b32 s6, s7, 25
	v_and_b32_e32 v2, 0x3ffffe00, v32
	s_add_i32 s5, s5, s6
	s_waitcnt vmcnt(0) lgkmcnt(0)
	v_and_b32_e32 v8, 1, v8
	v_add_nc_u32_e32 v9, v0, v9
	s_ashr_i32 s29, s21, 31
	s_ashr_i32 s25, s5, 7
	s_cmp_gt_i32 s23, 2
	v_lshlrev_b32_e32 v112, 4, v0
	v_dual_mov_b32 v115, 1 :: v_dual_and_b32 v10, 0xffffffe0, v9
	s_cselect_b32 s14, -1, 0
	s_add_i32 s13, s23, 1
	v_cmp_eq_u64_e64 s10, 0, v[26:27]
	s_delay_alu instid0(VALU_DEP_2)
	v_sub_nc_u32_e32 v81, v0, v10
	v_cmp_ne_u64_e64 s11, 0, v[26:27]
	v_ashrrev_i32_e32 v70, 31, v68
	v_cmp_eq_u32_e64 s2, 32, v1
	v_cmp_ne_u32_e64 s3, 32, v1
	v_cmp_lt_i32_e64 s6, v81, v36
	v_cmp_le_i32_e64 s12, v81, v36
	v_mov_b32_e32 v36, 0
	v_ashrrev_i32_e32 v80, 5, v9
	v_dual_mov_b32 v37, 0 :: v_dual_lshlrev_b32 v82, 9, v71
	v_lshl_add_u32 v9, v71, 10, 0xfffffc00
	s_delay_alu instid0(VALU_DEP_4) | instskip(NEXT) | instid1(VALU_DEP_4)
	v_dual_mov_b32 v12, v36 :: v_dual_and_b32 v87, 0xffffffe0, v1
	v_dual_mov_b32 v39, v3 :: v_dual_lshlrev_b32 v10, 10, v80
	s_delay_alu instid0(VALU_DEP_4) | instskip(SKIP_1) | instid1(VALU_DEP_3)
	v_mov_b32_e32 v13, v37
	v_dual_mov_b32 v38, v2 :: v_dual_add_nc_u32 v83, 0xfffffe00, v82
	v_lshl_add_u32 v34, v81, 4, v10
	v_ashrrev_i32_e32 v10, 31, v9
	v_add_co_u32 v84, s7, 0x400, v9
	v_lshl_add_u32 v9, v71, 8, 0xffffff00
	v_ashrrev_i32_e32 v86, 31, v83
	v_subrev_nc_u32_e32 v98, 32, v87
	v_add_co_ci_u32_e64 v85, s7, 0, v10, s7
	v_add_co_u32 v96, s7, 0x200, v83
	v_ashrrev_i32_e32 v10, 31, v9
	v_add_co_ci_u32_e64 v97, s7, 0, v86, s7
	v_add_co_u32 v99, s7, 0x100, v9
	v_ashrrev_i32_e32 v101, 31, v98
	s_delay_alu instid0(VALU_DEP_4) | instskip(SKIP_1) | instid1(VALU_DEP_1)
	v_add_co_ci_u32_e64 v100, s7, 0, v10, s7
	v_add_co_u32 v102, s7, v98, 32
	v_add_co_ci_u32_e64 v103, s7, 0, v101, s7
	v_cmp_eq_u32_e64 s7, 1, v8
	v_mad_i64_i32 v[32:33], null, v2, s23, 0
	v_cmp_ne_u32_e64 s4, v69, v1
	v_cmp_gt_i32_e64 s5, 1, v81
	s_delay_alu instid0(VALU_DEP_4)
	s_xor_b32 s22, s7, -1
	s_cmp_le_i32 s23, s13
	v_ashrrev_i32_e32 v35, 31, v34
	s_cselect_b32 s15, s23, 0
	v_sub_nc_u32_e32 v113, 0, v80
	v_ashrrev_i32_e32 v114, 31, v112
	s_sub_i32 s26, s13, s15
	s_add_i32 s27, s23, -2
	s_ashr_i32 vcc_hi, s26, 31
	s_xor_b32 s19, vcc_lo, -1
	s_sub_i32 s20, 0, s23
.LBB2_51:                               ; =>This Loop Header: Depth=1
                                        ;     Child Loop BB2_59 Depth 2
                                        ;       Child Loop BB2_68 Depth 3
                                        ;       Child Loop BB2_95 Depth 3
	;; [unrolled: 1-line block ×9, first 2 shown]
                                        ;     Child Loop BB2_222 Depth 2
                                        ;       Child Loop BB2_228 Depth 3
                                        ;       Child Loop BB2_255 Depth 3
	;; [unrolled: 1-line block ×3, first 2 shown]
                                        ;     Child Loop BB2_303 Depth 2
                                        ;       Child Loop BB2_305 Depth 3
                                        ;         Child Loop BB2_314 Depth 4
                                        ;         Child Loop BB2_346 Depth 4
                                        ;         Child Loop BB2_369 Depth 4
                                        ;         Child Loop BB2_392 Depth 4
                                        ;         Child Loop BB2_398 Depth 4
                                        ;         Child Loop BB2_408 Depth 4
                                        ;         Child Loop BB2_414 Depth 4
                                        ;         Child Loop BB2_426 Depth 4
                                        ;         Child Loop BB2_452 Depth 4
                                        ;       Child Loop BB2_473 Depth 3
                                        ;         Child Loop BB2_479 Depth 4
                                        ;         Child Loop BB2_509 Depth 4
	;; [unrolled: 1-line block ×3, first 2 shown]
                                        ;     Child Loop BB2_559 Depth 2
                                        ;       Child Loop BB2_568 Depth 3
                                        ;       Child Loop BB2_600 Depth 3
	;; [unrolled: 1-line block ×4, first 2 shown]
                                        ;         Child Loop BB2_653 Depth 4
                                        ;       Child Loop BB2_660 Depth 3
                                        ;         Child Loop BB2_661 Depth 4
                                        ;       Child Loop BB2_673 Depth 3
                                        ;       Child Loop BB2_679 Depth 3
                                        ;         Child Loop BB2_680 Depth 4
                                        ;       Child Loop BB2_696 Depth 3
                                        ;       Child Loop BB2_702 Depth 3
	;; [unrolled: 1-line block ×6, first 2 shown]
                                        ;     Child Loop BB2_778 Depth 2
                                        ;       Child Loop BB2_784 Depth 3
                                        ;       Child Loop BB2_816 Depth 3
                                        ;       Child Loop BB2_843 Depth 3
                                        ;     Child Loop BB2_864 Depth 2
                                        ;       Child Loop BB2_866 Depth 3
                                        ;         Child Loop BB2_875 Depth 4
                                        ;         Child Loop BB2_905 Depth 4
	;; [unrolled: 1-line block ×4, first 2 shown]
                                        ;           Child Loop BB2_954 Depth 5
                                        ;         Child Loop BB2_961 Depth 4
                                        ;           Child Loop BB2_962 Depth 5
                                        ;         Child Loop BB2_973 Depth 4
                                        ;         Child Loop BB2_979 Depth 4
                                        ;           Child Loop BB2_980 Depth 5
                                        ;         Child Loop BB2_994 Depth 4
                                        ;         Child Loop BB2_1000 Depth 4
	;; [unrolled: 1-line block ×6, first 2 shown]
                                        ;       Child Loop BB2_1075 Depth 3
                                        ;         Child Loop BB2_1081 Depth 4
                                        ;         Child Loop BB2_1111 Depth 4
	;; [unrolled: 1-line block ×3, first 2 shown]
                                        ;     Child Loop BB2_1160 Depth 2
                                        ;       Child Loop BB2_1169 Depth 3
                                        ;       Child Loop BB2_1196 Depth 3
	;; [unrolled: 1-line block ×9, first 2 shown]
                                        ;     Child Loop BB2_1321 Depth 2
                                        ;       Child Loop BB2_1327 Depth 3
                                        ;       Child Loop BB2_1354 Depth 3
	;; [unrolled: 1-line block ×3, first 2 shown]
	v_sub_co_u32 v48, vcc_lo, v4, v36
	v_sub_co_ci_u32_e32 v49, vcc_lo, v5, v37, vcc_lo
	s_mov_b32 s36, exec_lo
	s_delay_alu instid0(VALU_DEP_1)
	v_cmpx_lt_i64_e64 v[48:49], v[32:33]
	s_cbranch_execz .LBB2_57
; %bb.52:                               ;   in Loop: Header=BB2_51 Depth=1
	v_add_co_u32 v2, vcc_lo, s30, v48
	v_add_co_ci_u32_e32 v10, vcc_lo, s34, v49, vcc_lo
	v_mov_b32_e32 v8, v3
	s_delay_alu instid0(VALU_DEP_2) | instskip(NEXT) | instid1(VALU_DEP_1)
	v_or_b32_e32 v9, s28, v10
	v_cmp_ne_u64_e32 vcc_lo, 0, v[8:9]
                                        ; implicit-def: $vgpr8_vgpr9
	s_and_saveexec_b32 s13, vcc_lo
	s_delay_alu instid0(SALU_CYCLE_1)
	s_xor_b32 s37, exec_lo, s13
	s_cbranch_execz .LBB2_54
; %bb.53:                               ;   in Loop: Header=BB2_51 Depth=1
	s_add_u32 s16, s23, s28
	s_mov_b32 s38, s14
	s_mov_b32 s14, s28
	;; [unrolled: 1-line block ×3, first 2 shown]
	s_addc_u32 s17, s28, s28
	s_delay_alu instid0(SALU_CYCLE_1) | instskip(NEXT) | instid1(SALU_CYCLE_1)
	s_xor_b64 s[16:17], s[16:17], s[14:15]
	v_cvt_f32_u32_e32 v8, s16
	v_cvt_f32_u32_e32 v9, s17
	s_sub_u32 s13, 0, s16
	s_subb_u32 s39, 0, s17
	s_delay_alu instid0(VALU_DEP_1) | instskip(NEXT) | instid1(VALU_DEP_1)
	v_fmac_f32_e32 v8, 0x4f800000, v9
	v_rcp_f32_e32 v8, v8
	s_waitcnt_depctr 0xfff
	v_mul_f32_e32 v8, 0x5f7ffffc, v8
	s_delay_alu instid0(VALU_DEP_1) | instskip(NEXT) | instid1(VALU_DEP_1)
	v_mul_f32_e32 v9, 0x2f800000, v8
	v_trunc_f32_e32 v9, v9
	s_delay_alu instid0(VALU_DEP_1) | instskip(SKIP_1) | instid1(VALU_DEP_2)
	v_fmac_f32_e32 v8, 0xcf800000, v9
	v_cvt_u32_f32_e32 v9, v9
	v_cvt_u32_f32_e32 v8, v8
	s_delay_alu instid0(VALU_DEP_2) | instskip(NEXT) | instid1(VALU_DEP_2)
	v_mul_lo_u32 v11, s13, v9
	v_mul_hi_u32 v38, s13, v8
	v_mul_lo_u32 v39, s39, v8
	s_delay_alu instid0(VALU_DEP_2) | instskip(SKIP_1) | instid1(VALU_DEP_2)
	v_add_nc_u32_e32 v11, v38, v11
	v_mul_lo_u32 v38, s13, v8
	v_add_nc_u32_e32 v11, v11, v39
	s_delay_alu instid0(VALU_DEP_2) | instskip(NEXT) | instid1(VALU_DEP_2)
	v_mul_hi_u32 v39, v8, v38
	v_mul_lo_u32 v50, v8, v11
	v_mul_hi_u32 v51, v8, v11
	v_mul_hi_u32 v52, v9, v38
	v_mul_lo_u32 v38, v9, v38
	v_mul_hi_u32 v53, v9, v11
	v_mul_lo_u32 v11, v9, v11
	v_add_co_u32 v39, vcc_lo, v39, v50
	v_add_co_ci_u32_e32 v50, vcc_lo, 0, v51, vcc_lo
	s_delay_alu instid0(VALU_DEP_2) | instskip(NEXT) | instid1(VALU_DEP_2)
	v_add_co_u32 v38, vcc_lo, v39, v38
	v_add_co_ci_u32_e32 v38, vcc_lo, v50, v52, vcc_lo
	v_add_co_ci_u32_e32 v39, vcc_lo, 0, v53, vcc_lo
	v_ashrrev_i32_e32 v52, 31, v10
	s_delay_alu instid0(VALU_DEP_3) | instskip(NEXT) | instid1(VALU_DEP_3)
	v_add_co_u32 v11, vcc_lo, v38, v11
	v_add_co_ci_u32_e32 v38, vcc_lo, 0, v39, vcc_lo
	s_delay_alu instid0(VALU_DEP_2) | instskip(NEXT) | instid1(VALU_DEP_2)
	v_add_co_u32 v8, vcc_lo, v8, v11
	v_add_co_ci_u32_e32 v9, vcc_lo, v9, v38, vcc_lo
	s_delay_alu instid0(VALU_DEP_2) | instskip(SKIP_1) | instid1(VALU_DEP_3)
	v_mul_hi_u32 v11, s13, v8
	v_mul_lo_u32 v39, s39, v8
	v_mul_lo_u32 v38, s13, v9
	s_delay_alu instid0(VALU_DEP_1) | instskip(SKIP_1) | instid1(VALU_DEP_2)
	v_add_nc_u32_e32 v11, v11, v38
	v_mul_lo_u32 v38, s13, v8
	v_add_nc_u32_e32 v11, v11, v39
	s_delay_alu instid0(VALU_DEP_2) | instskip(NEXT) | instid1(VALU_DEP_2)
	v_mul_hi_u32 v39, v8, v38
	v_mul_lo_u32 v50, v8, v11
	v_mul_hi_u32 v51, v8, v11
	v_mul_hi_u32 v53, v9, v38
	v_mul_lo_u32 v38, v9, v38
	v_mul_hi_u32 v54, v9, v11
	v_mul_lo_u32 v11, v9, v11
	v_add_co_u32 v39, vcc_lo, v39, v50
	v_add_co_ci_u32_e32 v50, vcc_lo, 0, v51, vcc_lo
	s_delay_alu instid0(VALU_DEP_2) | instskip(NEXT) | instid1(VALU_DEP_2)
	v_add_co_u32 v38, vcc_lo, v39, v38
	v_add_co_ci_u32_e32 v38, vcc_lo, v50, v53, vcc_lo
	v_add_co_ci_u32_e32 v39, vcc_lo, 0, v54, vcc_lo
	v_add_co_u32 v2, vcc_lo, v2, v52
	v_add_co_ci_u32_e32 v10, vcc_lo, v10, v52, vcc_lo
	s_delay_alu instid0(VALU_DEP_4) | instskip(NEXT) | instid1(VALU_DEP_4)
	v_add_co_u32 v11, vcc_lo, v38, v11
	v_add_co_ci_u32_e32 v38, vcc_lo, 0, v39, vcc_lo
	s_delay_alu instid0(VALU_DEP_4) | instskip(NEXT) | instid1(VALU_DEP_3)
	v_xor_b32_e32 v2, v2, v52
	v_add_co_u32 v39, vcc_lo, v8, v11
	s_delay_alu instid0(VALU_DEP_3) | instskip(SKIP_1) | instid1(VALU_DEP_3)
	v_add_co_ci_u32_e32 v50, vcc_lo, v9, v38, vcc_lo
	v_xor_b32_e32 v51, v10, v52
	v_mul_hi_u32 v53, v2, v39
	s_delay_alu instid0(VALU_DEP_3) | instskip(NEXT) | instid1(VALU_DEP_3)
	v_mad_u64_u32 v[8:9], null, v2, v50, 0
	v_mad_u64_u32 v[10:11], null, v51, v39, 0
	;; [unrolled: 1-line block ×3, first 2 shown]
	s_delay_alu instid0(VALU_DEP_3) | instskip(NEXT) | instid1(VALU_DEP_4)
	v_add_co_u32 v8, vcc_lo, v53, v8
	v_add_co_ci_u32_e32 v9, vcc_lo, 0, v9, vcc_lo
	s_delay_alu instid0(VALU_DEP_2) | instskip(NEXT) | instid1(VALU_DEP_2)
	v_add_co_u32 v8, vcc_lo, v8, v10
	v_add_co_ci_u32_e32 v8, vcc_lo, v9, v11, vcc_lo
	v_add_co_ci_u32_e32 v9, vcc_lo, 0, v39, vcc_lo
	s_delay_alu instid0(VALU_DEP_2) | instskip(NEXT) | instid1(VALU_DEP_2)
	v_add_co_u32 v10, vcc_lo, v8, v38
	v_add_co_ci_u32_e32 v11, vcc_lo, 0, v9, vcc_lo
	s_delay_alu instid0(VALU_DEP_2) | instskip(SKIP_1) | instid1(VALU_DEP_3)
	v_mul_lo_u32 v38, s17, v10
	v_mad_u64_u32 v[8:9], null, s16, v10, 0
	v_mul_lo_u32 v39, s16, v11
	s_delay_alu instid0(VALU_DEP_2) | instskip(NEXT) | instid1(VALU_DEP_2)
	v_sub_co_u32 v2, vcc_lo, v2, v8
	v_add3_u32 v9, v9, v39, v38
	s_delay_alu instid0(VALU_DEP_1) | instskip(NEXT) | instid1(VALU_DEP_1)
	v_sub_nc_u32_e32 v38, v51, v9
	v_subrev_co_ci_u32_e64 v8, s13, s17, v38, vcc_lo
	v_add_co_u32 v38, s13, v10, 2
	s_delay_alu instid0(VALU_DEP_1) | instskip(SKIP_3) | instid1(VALU_DEP_3)
	v_add_co_ci_u32_e64 v39, s13, 0, v11, s13
	v_sub_co_u32 v50, s13, v2, s16
	v_sub_co_ci_u32_e32 v9, vcc_lo, v51, v9, vcc_lo
	v_subrev_co_ci_u32_e64 v8, s13, 0, v8, s13
	v_cmp_le_u32_e32 vcc_lo, s16, v50
	s_delay_alu instid0(VALU_DEP_3) | instskip(SKIP_1) | instid1(VALU_DEP_4)
	v_cmp_eq_u32_e64 s13, s17, v9
	v_cndmask_b32_e64 v50, 0, -1, vcc_lo
	v_cmp_le_u32_e32 vcc_lo, s17, v8
	v_cndmask_b32_e64 v51, 0, -1, vcc_lo
	v_cmp_le_u32_e32 vcc_lo, s16, v2
	;; [unrolled: 2-line block ×3, first 2 shown]
	v_cndmask_b32_e64 v53, 0, -1, vcc_lo
	v_cmp_eq_u32_e32 vcc_lo, s17, v8
	s_delay_alu instid0(VALU_DEP_2) | instskip(SKIP_3) | instid1(VALU_DEP_3)
	v_cndmask_b32_e64 v2, v53, v2, s13
	v_cndmask_b32_e32 v8, v51, v50, vcc_lo
	v_add_co_u32 v50, vcc_lo, v10, 1
	v_add_co_ci_u32_e32 v51, vcc_lo, 0, v11, vcc_lo
	v_cmp_ne_u32_e32 vcc_lo, 0, v8
	s_delay_alu instid0(VALU_DEP_2) | instskip(SKIP_3) | instid1(VALU_DEP_3)
	v_dual_cndmask_b32 v8, v51, v39 :: v_dual_cndmask_b32 v9, v50, v38
	v_cmp_ne_u32_e32 vcc_lo, 0, v2
	v_xor_b32_e32 v2, s14, v52
	s_mov_b32 s14, s38
	v_dual_cndmask_b32 v8, v11, v8 :: v_dual_cndmask_b32 v9, v10, v9
	v_xor_b32_e32 v10, s15, v52
	s_delay_alu instid0(VALU_DEP_2) | instskip(NEXT) | instid1(VALU_DEP_2)
	v_xor_b32_e32 v9, v9, v2
	v_xor_b32_e32 v11, v8, v10
	s_delay_alu instid0(VALU_DEP_2) | instskip(NEXT) | instid1(VALU_DEP_2)
	v_sub_co_u32 v8, vcc_lo, v9, v2
	v_sub_co_ci_u32_e32 v9, vcc_lo, v11, v10, vcc_lo
                                        ; implicit-def: $vgpr2
.LBB2_54:                               ;   in Loop: Header=BB2_51 Depth=1
	s_and_not1_saveexec_b32 s13, s37
	s_cbranch_execz .LBB2_56
; %bb.55:                               ;   in Loop: Header=BB2_51 Depth=1
	v_cvt_f32_u32_e32 v8, s23
	s_delay_alu instid0(VALU_DEP_1) | instskip(SKIP_2) | instid1(VALU_DEP_1)
	v_rcp_iflag_f32_e32 v8, v8
	s_waitcnt_depctr 0xfff
	v_mul_f32_e32 v8, 0x4f7ffffe, v8
	v_cvt_u32_f32_e32 v8, v8
	s_delay_alu instid0(VALU_DEP_1) | instskip(NEXT) | instid1(VALU_DEP_1)
	v_mul_lo_u32 v9, s20, v8
	v_mul_hi_u32 v9, v8, v9
	s_delay_alu instid0(VALU_DEP_1) | instskip(NEXT) | instid1(VALU_DEP_1)
	v_add_nc_u32_e32 v8, v8, v9
	v_mul_hi_u32 v8, v2, v8
	s_delay_alu instid0(VALU_DEP_1) | instskip(NEXT) | instid1(VALU_DEP_1)
	v_mul_lo_u32 v9, v8, s23
	v_sub_nc_u32_e32 v2, v2, v9
	s_delay_alu instid0(VALU_DEP_1) | instskip(SKIP_1) | instid1(VALU_DEP_2)
	v_subrev_nc_u32_e32 v10, s23, v2
	v_cmp_le_u32_e32 vcc_lo, s23, v2
	v_dual_cndmask_b32 v2, v2, v10 :: v_dual_add_nc_u32 v9, 1, v8
	s_delay_alu instid0(VALU_DEP_1) | instskip(NEXT) | instid1(VALU_DEP_2)
	v_cndmask_b32_e32 v8, v8, v9, vcc_lo
	v_cmp_le_u32_e32 vcc_lo, s23, v2
	s_delay_alu instid0(VALU_DEP_2) | instskip(NEXT) | instid1(VALU_DEP_1)
	v_add_nc_u32_e32 v9, 1, v8
	v_cndmask_b32_e32 v2, v8, v9, vcc_lo
	s_delay_alu instid0(VALU_DEP_1)
	v_dual_mov_b32 v9, v3 :: v_dual_mov_b32 v8, v2
.LBB2_56:                               ;   in Loop: Header=BB2_51 Depth=1
	s_or_b32 exec_lo, exec_lo, s13
	s_delay_alu instid0(VALU_DEP_1) | instskip(NEXT) | instid1(VALU_DEP_2)
	v_add_co_u32 v2, vcc_lo, v8, 15
	v_add_co_ci_u32_e32 v39, vcc_lo, 0, v9, vcc_lo
	s_delay_alu instid0(VALU_DEP_2)
	v_and_b32_e32 v38, -16, v2
.LBB2_57:                               ;   in Loop: Header=BB2_51 Depth=1
	s_or_b32 exec_lo, exec_lo, s36
	s_delay_alu instid0(VALU_DEP_2) | instskip(NEXT) | instid1(VALU_DEP_2)
	v_mul_lo_u32 v2, v39, s21
	v_mul_lo_u32 v8, v38, s29
	v_mad_u64_u32 v[10:11], null, v38, s21, 0
	s_mov_b32 s16, 0
	v_mov_b32_e32 v55, 0
	s_delay_alu instid0(VALU_DEP_2) | instskip(NEXT) | instid1(VALU_DEP_3)
	v_add3_u32 v11, v11, v8, v2
	v_sub_co_u32 v8, vcc_lo, v48, v10
	s_delay_alu instid0(VALU_DEP_2) | instskip(NEXT) | instid1(VALU_DEP_1)
	v_sub_co_ci_u32_e32 v9, vcc_lo, v49, v11, vcc_lo
	v_cmp_lt_i64_e32 vcc_lo, v[38:39], v[8:9]
	v_cndmask_b32_e32 v8, v8, v38, vcc_lo
	v_add_co_u32 v116, vcc_lo, v36, v14
	v_add_co_ci_u32_e32 v117, vcc_lo, v37, v15, vcc_lo
	s_delay_alu instid0(VALU_DEP_3) | instskip(SKIP_1) | instid1(VALU_DEP_2)
	v_max_i32_e32 v54, 0, v8
	v_cmp_lt_i32_e32 vcc_lo, 0, v8
	v_add_nc_u32_e32 v2, 31, v54
	s_and_b32 s13, s19, vcc_lo
	s_delay_alu instid0(VALU_DEP_1) | instskip(NEXT) | instid1(VALU_DEP_1)
	v_lshrrev_b32_e32 v2, 1, v2
	v_dual_mov_b32 v2, 0 :: v_dual_and_b32 v9, 0x3ffffff0, v2
	s_delay_alu instid0(VALU_DEP_1)
	v_max_i32_e32 v8, s25, v9
	s_and_saveexec_b32 s15, s13
	s_cbranch_execz .LBB2_220
; %bb.58:                               ;   in Loop: Header=BB2_51 Depth=1
	v_mov_b32_e32 v55, 0
	s_mov_b32 s13, 1
	s_mov_b32 s17, -1
.LBB2_59:                               ;   Parent Loop BB2_51 Depth=1
                                        ; =>  This Loop Header: Depth=2
                                        ;       Child Loop BB2_68 Depth 3
                                        ;       Child Loop BB2_95 Depth 3
	;; [unrolled: 1-line block ×9, first 2 shown]
	s_and_saveexec_b32 s36, s0
	s_cbranch_execz .LBB2_62
; %bb.60:                               ;   in Loop: Header=BB2_59 Depth=2
	s_cbranch_execnz .LBB2_1451
; %bb.61:                               ;   in Loop: Header=BB2_59 Depth=2
	ds_load_b64 v[50:51], v0
	s_waitcnt lgkmcnt(0)
	v_add_co_u32 v2, vcc_lo, v50, v116
	v_add_co_ci_u32_e32 v9, vcc_lo, v51, v117, vcc_lo
	v_ashrrev_i32_e32 v51, 31, v55
	s_delay_alu instid0(VALU_DEP_3) | instskip(NEXT) | instid1(VALU_DEP_3)
	v_add_co_u32 v2, vcc_lo, v2, v10
	v_add_co_ci_u32_e32 v9, vcc_lo, v9, v11, vcc_lo
	s_delay_alu instid0(VALU_DEP_2) | instskip(NEXT) | instid1(VALU_DEP_2)
	v_add_co_u32 v50, vcc_lo, v2, v55
	v_add_co_ci_u32_e32 v51, vcc_lo, v9, v51, vcc_lo
	v_mov_b32_e32 v2, v3
	ds_store_b64 v0, v[50:51]
	ds_store_b64 v0, v[2:3]
.LBB2_62:                               ;   in Loop: Header=BB2_59 Depth=2
	s_or_b32 exec_lo, exec_lo, s36
	v_and_b32_e32 v2, 8, v30
	s_mov_b32 s37, -1
	s_mov_b32 s36, exec_lo
	s_delay_alu instid0(VALU_DEP_1)
	v_cmpx_ne_u32_e32 0, v2
	s_cbranch_execz .LBB2_76
; %bb.63:                               ;   in Loop: Header=BB2_59 Depth=2
	v_add_co_u32 v52, vcc_lo, v28, 8
	v_add_co_ci_u32_e32 v53, vcc_lo, 0, v29, vcc_lo
	v_add_co_u32 v50, vcc_lo, v22, 2
	v_add_co_ci_u32_e32 v51, vcc_lo, 0, v23, vcc_lo
	v_mov_b32_e32 v2, 1
	s_mov_b32 s37, exec_lo
	s_delay_alu instid0(VALU_DEP_2)
	v_cmpx_lt_u64_e64 v[52:53], v[50:51]
	s_cbranch_execz .LBB2_75
; %bb.64:                               ;   in Loop: Header=BB2_59 Depth=2
	v_mov_b32_e32 v2, 0
	s_mov_b32 s38, 0
                                        ; implicit-def: $sgpr39
	s_branch .LBB2_68
.LBB2_65:                               ;   in Loop: Header=BB2_68 Depth=3
	s_or_b32 exec_lo, exec_lo, s43
	v_mov_b32_e32 v9, 0
	s_or_not1_b32 s42, s42, exec_lo
.LBB2_66:                               ;   in Loop: Header=BB2_68 Depth=3
	s_or_b32 exec_lo, exec_lo, s41
	s_delay_alu instid0(VALU_DEP_1) | instskip(SKIP_2) | instid1(SALU_CYCLE_1)
	v_mov_b32_e32 v2, v9
	s_and_not1_b32 vcc_lo, s39, exec_lo
	s_and_b32 s39, s42, exec_lo
	s_or_b32 s39, vcc_lo, s39
.LBB2_67:                               ;   in Loop: Header=BB2_68 Depth=3
	s_or_b32 exec_lo, exec_lo, s40
	s_waitcnt vmcnt(0) lgkmcnt(0)
	v_add_co_u32 v52, vcc_lo, v28, 8
	v_add_co_ci_u32_e32 v53, vcc_lo, 0, v29, vcc_lo
	s_xor_b32 s40, s39, -1
	s_delay_alu instid0(VALU_DEP_1) | instskip(SKIP_1) | instid1(SALU_CYCLE_1)
	v_cmp_ge_u64_e32 vcc_lo, v[52:53], v[50:51]
	s_or_b32 vcc_lo, s40, vcc_lo
	s_and_b32 vcc_lo, exec_lo, vcc_lo
	s_delay_alu instid0(SALU_CYCLE_1) | instskip(NEXT) | instid1(SALU_CYCLE_1)
	s_or_b32 s38, vcc_lo, s38
	s_and_not1_b32 exec_lo, exec_lo, s38
	s_cbranch_execz .LBB2_74
.LBB2_68:                               ;   Parent Loop BB2_51 Depth=1
                                        ;     Parent Loop BB2_59 Depth=2
                                        ; =>    This Inner Loop Header: Depth=3
	s_sleep 1
	flat_load_b64 v[28:29], v[20:21] glc
	v_and_b32_e32 v9, 64, v30
	s_and_not1_b32 s39, s39, exec_lo
	s_mov_b32 s40, exec_lo
	s_delay_alu instid0(VALU_DEP_1)
	v_cmpx_eq_u32_e32 0, v9
	s_cbranch_execz .LBB2_67
; %bb.69:                               ;   in Loop: Header=BB2_68 Depth=3
	v_add_nc_u32_e32 v9, 1, v2
	s_mov_b32 s42, -1
	s_mov_b32 s41, exec_lo
	v_cmpx_lt_i32_e32 0x270e, v2
	s_cbranch_execz .LBB2_66
; %bb.70:                               ;   in Loop: Header=BB2_68 Depth=3
	s_cbranch_execnz .LBB2_1473
; %bb.71:                               ;   in Loop: Header=BB2_68 Depth=3
	ds_load_b64 v[52:53], v0
	s_mov_b32 s43, exec_lo
	s_waitcnt vmcnt(0) lgkmcnt(0)
	s_waitcnt_vscnt null, 0x0
	flat_load_b32 v2, v[52:53] glc
	s_waitcnt vmcnt(0) lgkmcnt(0)
	buffer_gl1_inv
	buffer_gl0_inv
	v_cmpx_ne_u32_e32 0, v2
	s_cbranch_execz .LBB2_65
; %bb.72:                               ;   in Loop: Header=BB2_68 Depth=3
	ds_store_b32 v0, v2
	s_cbranch_execnz .LBB2_1492
; %bb.73:                               ;   in Loop: Header=BB2_68 Depth=3
	v_or_b32_e32 v30, 64, v30
	s_xor_b32 s42, exec_lo, -1
	s_branch .LBB2_65
.LBB2_74:                               ;   in Loop: Header=BB2_59 Depth=2
	s_or_b32 exec_lo, exec_lo, s38
	v_and_b32_e32 v2, 8, v30
.LBB2_75:                               ;   in Loop: Header=BB2_59 Depth=2
	s_or_b32 exec_lo, exec_lo, s37
	s_delay_alu instid0(VALU_DEP_1)
	v_cmp_eq_u32_e32 vcc_lo, 0, v2
	;;#ASMSTART
	s_wakeup
	;;#ASMEND
	s_or_not1_b32 s37, vcc_lo, exec_lo
.LBB2_76:                               ;   in Loop: Header=BB2_59 Depth=2
	s_or_b32 exec_lo, exec_lo, s36
	v_sub_nc_u32_e32 v2, v54, v55
	s_xor_b32 vcc_lo, s37, -1
	s_delay_alu instid0(VALU_DEP_1)
	v_min_i32_e32 v8, v8, v2
	s_and_saveexec_b32 s36, vcc_lo
	s_cbranch_execz .LBB2_86
; %bb.77:                               ;   in Loop: Header=BB2_59 Depth=2
	v_and_b32_e32 v2, 0x100, v30
	s_mov_b32 s39, -1
                                        ; implicit-def: $vgpr50_vgpr51
	s_delay_alu instid0(VALU_DEP_1)
	v_cmp_ne_u32_e32 vcc_lo, 0, v2
	v_and_b32_e32 v2, 7, v22
	s_and_saveexec_b32 s37, vcc_lo
	s_cbranch_execz .LBB2_81
; %bb.78:                               ;   in Loop: Header=BB2_59 Depth=2
	s_delay_alu instid0(VALU_DEP_1)
	v_mad_u64_u32 v[52:53], null, v2, 24, v[6:7]
	s_mov_b32 s38, s13
	v_ashrrev_i32_e32 v9, 31, v8
	flat_load_b32 v50, v[52:53]
	flat_store_b64 v[52:53], v[8:9] offset:8
	s_waitcnt vmcnt(0) lgkmcnt(1)
	v_cmp_ne_u32_e32 vcc_lo, 1, v50
	v_cmp_eq_u32_e64 s13, 1, v50
                                        ; implicit-def: $vgpr50_vgpr51
	s_delay_alu instid0(VALU_DEP_1)
	s_and_saveexec_b32 s39, s13
	s_cbranch_execz .LBB2_80
; %bb.79:                               ;   in Loop: Header=BB2_59 Depth=2
	flat_load_b32 v50, v[52:53] offset:4 glc
	s_waitcnt vmcnt(0) lgkmcnt(0)
	v_ashrrev_i32_e32 v51, 31, v50
.LBB2_80:                               ;   in Loop: Header=BB2_59 Depth=2
	s_or_b32 exec_lo, exec_lo, s39
	s_delay_alu instid0(SALU_CYCLE_1)
	s_or_not1_b32 s39, vcc_lo, exec_lo
	s_mov_b32 s13, s38
.LBB2_81:                               ;   in Loop: Header=BB2_59 Depth=2
	s_or_b32 exec_lo, exec_lo, s37
	s_and_saveexec_b32 vcc_lo, s39
; %bb.82:                               ;   in Loop: Header=BB2_59 Depth=2
	v_mad_i64_i32 v[50:51], null, v2, v68, 0
; %bb.83:                               ;   in Loop: Header=BB2_59 Depth=2
	s_or_b32 exec_lo, exec_lo, vcc_lo
	s_delay_alu instid0(VALU_DEP_1) | instskip(SKIP_1) | instid1(VALU_DEP_3)
	v_add_co_u32 v50, vcc_lo, v24, v50
	v_and_b32_e32 v2, 0x2000, v30
	v_add_co_ci_u32_e32 v51, vcc_lo, v25, v51, vcc_lo
	s_mov_b32 s37, exec_lo
	ds_store_b64 v0, v[50:51] offset:784
	v_cmpx_ne_u32_e32 0, v2
	s_cbranch_execz .LBB2_85
; %bb.84:                               ;   in Loop: Header=BB2_59 Depth=2
	ds_load_b64 v[50:51], v0 offset:584
	s_waitcnt lgkmcnt(0)
	v_add_co_u32 v50, vcc_lo, v50, 1
	v_add_co_ci_u32_e32 v51, vcc_lo, 0, v51, vcc_lo
	ds_store_b64 v0, v[50:51] offset:584
.LBB2_85:                               ;   in Loop: Header=BB2_59 Depth=2
	s_or_b32 exec_lo, exec_lo, s37
	v_add_co_u32 v22, vcc_lo, v22, 2
	v_add_co_ci_u32_e32 v23, vcc_lo, 0, v23, vcc_lo
.LBB2_86:                               ;   in Loop: Header=BB2_59 Depth=2
	s_or_b32 exec_lo, exec_lo, s36
	s_and_saveexec_b32 s36, s3
	s_cbranch_execz .LBB2_108
; %bb.87:                               ;   in Loop: Header=BB2_59 Depth=2
	s_and_saveexec_b32 vcc_lo, s4
	s_delay_alu instid0(SALU_CYCLE_1)
	s_xor_b32 s37, exec_lo, vcc_lo
	s_cbranch_execz .LBB2_105
; %bb.88:                               ;   in Loop: Header=BB2_59 Depth=2
	s_and_saveexec_b32 s38, s1
	s_cbranch_execz .LBB2_104
; %bb.89:                               ;   in Loop: Header=BB2_59 Depth=2
	s_mov_b32 s40, exec_lo
	s_mov_b32 s39, exec_lo
	v_mbcnt_lo_u32_b32 v2, s40, 0
	s_waitcnt lgkmcnt(0)
	s_waitcnt_vscnt null, 0x0
	buffer_gl1_inv
	buffer_gl0_inv
	v_cmpx_eq_u32_e32 0, v2
	s_cbranch_execz .LBB2_91
; %bb.90:                               ;   in Loop: Header=BB2_59 Depth=2
	s_bcnt1_i32_b32 vcc_lo, s40
	s_delay_alu instid0(SALU_CYCLE_1)
	v_mov_b32_e32 v2, vcc_lo
	ds_add_u64 v0, v[2:3]
	s_cbranch_execnz .LBB2_1518
.LBB2_91:                               ;   in Loop: Header=BB2_59 Depth=2
	s_or_b32 exec_lo, exec_lo, s39
	s_cbranch_execnz .LBB2_1498
; %bb.92:                               ;   in Loop: Header=BB2_59 Depth=2
	ds_load_b64 v[50:51], v0
	v_add_co_u32 v12, vcc_lo, v12, v71
	v_add_co_ci_u32_e32 v13, vcc_lo, 0, v13, vcc_lo
	s_mov_b32 s39, exec_lo
	s_waitcnt lgkmcnt(0)
	s_delay_alu instid0(VALU_DEP_1)
	v_cmpx_lt_u64_e64 v[50:51], v[12:13]
	s_cbranch_execz .LBB2_103
; %bb.93:                               ;   in Loop: Header=BB2_59 Depth=2
	s_mov_b32 s40, 0
	s_mov_b32 s43, 0
                                        ; implicit-def: $sgpr41
                                        ; implicit-def: $sgpr42
	s_branch .LBB2_95
.LBB2_94:                               ;   in Loop: Header=BB2_95 Depth=3
	s_or_b32 exec_lo, exec_lo, s45
	s_delay_alu instid0(SALU_CYCLE_1) | instskip(NEXT) | instid1(SALU_CYCLE_1)
	s_and_b32 vcc_lo, exec_lo, vcc_lo
	s_or_b32 s40, vcc_lo, s40
	s_and_not1_b32 vcc_lo, s41, exec_lo
	s_and_b32 s41, s42, exec_lo
	s_delay_alu instid0(SALU_CYCLE_1)
	s_or_b32 s41, vcc_lo, s41
	s_and_not1_b32 exec_lo, exec_lo, s40
	s_cbranch_execz .LBB2_101
.LBB2_95:                               ;   Parent Loop BB2_51 Depth=1
                                        ;     Parent Loop BB2_59 Depth=2
                                        ; =>    This Inner Loop Header: Depth=3
	s_add_i32 s43, s43, 1
                                        ; implicit-def: $sgpr45
	s_delay_alu instid0(SALU_CYCLE_1) | instskip(SKIP_1) | instid1(SALU_CYCLE_1)
	s_cmpk_lg_i32 s43, 0x2710
	s_cselect_b32 s44, -1, 0
	s_and_b32 vcc_lo, exec_lo, s44
	s_cbranch_vccz .LBB2_99
.LBB2_96:                               ;   in Loop: Header=BB2_95 Depth=3
	s_and_not1_b32 s42, s42, exec_lo
	s_and_b32 s45, s45, exec_lo
	s_mov_b32 vcc_lo, -1
	s_or_b32 s42, s42, s45
	s_and_saveexec_b32 s45, s44
	s_cbranch_execz .LBB2_94
; %bb.97:                               ;   in Loop: Header=BB2_95 Depth=3
	s_sleep 1
	s_cbranch_execnz .LBB2_1546
; %bb.98:                               ;   in Loop: Header=BB2_95 Depth=3
	ds_load_b64 v[50:51], v0
	s_and_not1_b32 s42, s42, exec_lo
	s_waitcnt lgkmcnt(0)
	v_cmp_ge_u64_e32 vcc_lo, v[50:51], v[12:13]
	s_or_not1_b32 vcc_lo, vcc_lo, exec_lo
	s_branch .LBB2_94
.LBB2_99:                               ;   in Loop: Header=BB2_95 Depth=3
	s_cbranch_execnz .LBB2_1552
; %bb.100:                              ;   in Loop: Header=BB2_95 Depth=3
	ds_load_b64 v[50:51], v0
	s_and_not1_b32 s44, s44, exec_lo
	s_mov_b32 s43, 0
	s_mov_b32 s45, -1
	s_waitcnt lgkmcnt(0)
	flat_load_b32 v2, v[50:51] glc
	s_waitcnt vmcnt(0) lgkmcnt(0)
	buffer_gl1_inv
	buffer_gl0_inv
	v_cmp_eq_u32_e32 vcc_lo, 0, v2
	s_and_b32 vcc_lo, vcc_lo, exec_lo
	s_delay_alu instid0(SALU_CYCLE_1)
	s_or_b32 s44, s44, vcc_lo
	s_branch .LBB2_96
.LBB2_101:                              ;   in Loop: Header=BB2_59 Depth=2
	s_or_b32 exec_lo, exec_lo, s40
	s_and_saveexec_b32 vcc_lo, s41
	s_delay_alu instid0(SALU_CYCLE_1)
	s_xor_b32 vcc_lo, exec_lo, vcc_lo
	s_cbranch_execz .LBB2_103
; %bb.102:                              ;   in Loop: Header=BB2_59 Depth=2
	ds_store_b32 v0, v115
	s_cbranch_execnz .LBB2_1766
.LBB2_103:                              ;   in Loop: Header=BB2_59 Depth=2
	s_or_b32 exec_lo, exec_lo, s39
	;;#ASMSTART
	s_wakeup
	;;#ASMEND
.LBB2_104:                              ;   in Loop: Header=BB2_59 Depth=2
	s_or_b32 exec_lo, exec_lo, s38
.LBB2_105:                              ;   in Loop: Header=BB2_59 Depth=2
	s_and_not1_saveexec_b32 vcc_lo, s37
	s_cbranch_execz .LBB2_107
; %bb.106:                              ;   in Loop: Header=BB2_59 Depth=2
	s_waitcnt lgkmcnt(0)
	s_waitcnt_vscnt null, 0x0
	buffer_gl1_inv
	buffer_gl0_inv
	s_barrier
.LBB2_107:                              ;   in Loop: Header=BB2_59 Depth=2
	s_or_b32 exec_lo, exec_lo, vcc_lo
.LBB2_108:                              ;   in Loop: Header=BB2_59 Depth=2
	s_delay_alu instid0(SALU_CYCLE_1)
	s_or_b32 exec_lo, exec_lo, s36
	s_cbranch_execnz .LBB2_1449
; %bb.109:                              ;   in Loop: Header=BB2_59 Depth=2
	ds_load_b32 v50, v0
	v_and_b32_e32 v2, 0x4000, v30
	s_xor_b32 s36, s2, -1
	s_delay_alu instid0(VALU_DEP_1) | instskip(SKIP_1) | instid1(SALU_CYCLE_1)
	v_cmp_ne_u32_e32 vcc_lo, 0, v2
	s_and_b32 vcc_lo, s36, vcc_lo
	s_and_saveexec_b32 s36, vcc_lo
	s_cbranch_execz .LBB2_131
; %bb.110:                              ;   in Loop: Header=BB2_59 Depth=2
	s_and_saveexec_b32 vcc_lo, s4
	s_delay_alu instid0(SALU_CYCLE_1)
	s_xor_b32 s37, exec_lo, vcc_lo
	s_cbranch_execz .LBB2_128
; %bb.111:                              ;   in Loop: Header=BB2_59 Depth=2
	s_and_saveexec_b32 s38, s1
	s_cbranch_execz .LBB2_127
; %bb.112:                              ;   in Loop: Header=BB2_59 Depth=2
	s_mov_b32 s40, exec_lo
	s_mov_b32 s39, exec_lo
	v_mbcnt_lo_u32_b32 v2, s40, 0
	s_waitcnt lgkmcnt(0)
	s_waitcnt_vscnt null, 0x0
	buffer_gl1_inv
	buffer_gl0_inv
	v_cmpx_eq_u32_e32 0, v2
	s_cbranch_execz .LBB2_114
; %bb.113:                              ;   in Loop: Header=BB2_59 Depth=2
	s_bcnt1_i32_b32 vcc_lo, s40
	s_delay_alu instid0(SALU_CYCLE_1)
	v_mov_b32_e32 v2, vcc_lo
	ds_add_u64 v0, v[2:3]
	s_cbranch_execnz .LBB2_1544
.LBB2_114:                              ;   in Loop: Header=BB2_59 Depth=2
	s_or_b32 exec_lo, exec_lo, s39
	s_cbranch_execnz .LBB2_1532
; %bb.115:                              ;   in Loop: Header=BB2_59 Depth=2
	ds_load_b64 v[51:52], v0
	v_add_co_u32 v12, vcc_lo, v12, v71
	v_add_co_ci_u32_e32 v13, vcc_lo, 0, v13, vcc_lo
	s_mov_b32 s39, exec_lo
	s_waitcnt lgkmcnt(0)
	s_delay_alu instid0(VALU_DEP_1)
	v_cmpx_lt_u64_e64 v[51:52], v[12:13]
	s_cbranch_execz .LBB2_126
; %bb.116:                              ;   in Loop: Header=BB2_59 Depth=2
	s_mov_b32 s40, 0
	s_mov_b32 s43, 0
                                        ; implicit-def: $sgpr41
                                        ; implicit-def: $sgpr42
	s_branch .LBB2_118
.LBB2_117:                              ;   in Loop: Header=BB2_118 Depth=3
	s_or_b32 exec_lo, exec_lo, s45
	s_delay_alu instid0(SALU_CYCLE_1) | instskip(NEXT) | instid1(SALU_CYCLE_1)
	s_and_b32 vcc_lo, exec_lo, vcc_lo
	s_or_b32 s40, vcc_lo, s40
	s_and_not1_b32 vcc_lo, s41, exec_lo
	s_and_b32 s41, s42, exec_lo
	s_delay_alu instid0(SALU_CYCLE_1)
	s_or_b32 s41, vcc_lo, s41
	s_and_not1_b32 exec_lo, exec_lo, s40
	s_cbranch_execz .LBB2_124
.LBB2_118:                              ;   Parent Loop BB2_51 Depth=1
                                        ;     Parent Loop BB2_59 Depth=2
                                        ; =>    This Inner Loop Header: Depth=3
	s_add_i32 s43, s43, 1
                                        ; implicit-def: $sgpr45
	s_delay_alu instid0(SALU_CYCLE_1) | instskip(SKIP_1) | instid1(SALU_CYCLE_1)
	s_cmpk_lg_i32 s43, 0x2710
	s_cselect_b32 s44, -1, 0
	s_and_b32 vcc_lo, exec_lo, s44
	s_cbranch_vccz .LBB2_122
.LBB2_119:                              ;   in Loop: Header=BB2_118 Depth=3
	s_and_not1_b32 s42, s42, exec_lo
	s_and_b32 s45, s45, exec_lo
	s_mov_b32 vcc_lo, -1
	s_or_b32 s42, s42, s45
	s_and_saveexec_b32 s45, s44
	s_cbranch_execz .LBB2_117
; %bb.120:                              ;   in Loop: Header=BB2_118 Depth=3
	s_sleep 1
	s_cbranch_execnz .LBB2_1584
; %bb.121:                              ;   in Loop: Header=BB2_118 Depth=3
	ds_load_b64 v[51:52], v0
	s_and_not1_b32 s42, s42, exec_lo
	s_waitcnt lgkmcnt(0)
	v_cmp_ge_u64_e32 vcc_lo, v[51:52], v[12:13]
	s_or_not1_b32 vcc_lo, vcc_lo, exec_lo
	s_branch .LBB2_117
.LBB2_122:                              ;   in Loop: Header=BB2_118 Depth=3
	s_cbranch_execnz .LBB2_1602
; %bb.123:                              ;   in Loop: Header=BB2_118 Depth=3
	ds_load_b64 v[51:52], v0
	s_and_not1_b32 s44, s44, exec_lo
	s_mov_b32 s43, 0
	s_mov_b32 s45, -1
	s_waitcnt lgkmcnt(0)
	flat_load_b32 v2, v[51:52] glc
	s_waitcnt vmcnt(0) lgkmcnt(0)
	buffer_gl1_inv
	buffer_gl0_inv
	v_cmp_eq_u32_e32 vcc_lo, 0, v2
	s_and_b32 vcc_lo, vcc_lo, exec_lo
	s_delay_alu instid0(SALU_CYCLE_1)
	s_or_b32 s44, s44, vcc_lo
	s_branch .LBB2_119
.LBB2_124:                              ;   in Loop: Header=BB2_59 Depth=2
	s_or_b32 exec_lo, exec_lo, s40
	s_and_saveexec_b32 vcc_lo, s41
	s_delay_alu instid0(SALU_CYCLE_1)
	s_xor_b32 vcc_lo, exec_lo, vcc_lo
	s_cbranch_execz .LBB2_126
; %bb.125:                              ;   in Loop: Header=BB2_59 Depth=2
	ds_store_b32 v0, v115
	s_cbranch_execnz .LBB2_1816
.LBB2_126:                              ;   in Loop: Header=BB2_59 Depth=2
	s_or_b32 exec_lo, exec_lo, s39
	;;#ASMSTART
	s_wakeup
	;;#ASMEND
.LBB2_127:                              ;   in Loop: Header=BB2_59 Depth=2
	s_or_b32 exec_lo, exec_lo, s38
.LBB2_128:                              ;   in Loop: Header=BB2_59 Depth=2
	s_and_not1_saveexec_b32 vcc_lo, s37
	s_cbranch_execz .LBB2_130
; %bb.129:                              ;   in Loop: Header=BB2_59 Depth=2
	s_waitcnt lgkmcnt(0)
	s_waitcnt_vscnt null, 0x0
	buffer_gl1_inv
	buffer_gl0_inv
	s_barrier
.LBB2_130:                              ;   in Loop: Header=BB2_59 Depth=2
	s_or_b32 exec_lo, exec_lo, vcc_lo
.LBB2_131:                              ;   in Loop: Header=BB2_59 Depth=2
	s_delay_alu instid0(SALU_CYCLE_1)
	s_or_b32 exec_lo, exec_lo, s36
	s_cbranch_execnz .LBB2_1475
; %bb.132:                              ;   in Loop: Header=BB2_59 Depth=2
	ds_load_b64 v[51:52], v0
	v_mov_b32_e32 v9, 0
	s_waitcnt lgkmcnt(0)
	v_cmp_eq_u64_e32 vcc_lo, 0, v[51:52]
	s_or_b32 vcc_lo, vcc_lo, vcc_lo
	s_delay_alu instid0(SALU_CYCLE_1)
	s_and_b32 vcc_lo, exec_lo, vcc_lo
	s_cbranch_vccnz .LBB2_166
; %bb.133:                              ;   in Loop: Header=BB2_59 Depth=2
	s_mov_b32 s36, s13
	s_mov_b32 s37, vcc_hi
	s_mov_b32 vcc_hi, s22
	s_mov_b32 s22, s14
	s_mov_b32 s13, -1
	s_and_saveexec_b32 s14, s5
	s_cbranch_execz .LBB2_135
; %bb.134:                              ;   in Loop: Header=BB2_59 Depth=2
	ds_load_b32 v2, v0 offset:720
	s_waitcnt lgkmcnt(0)
	v_and_b32_e32 v2, 15, v2
	s_delay_alu instid0(VALU_DEP_1)
	v_cmp_eq_u32_e32 vcc_lo, 0, v2
	s_or_not1_b32 s13, vcc_lo, exec_lo
.LBB2_135:                              ;   in Loop: Header=BB2_59 Depth=2
	s_or_b32 exec_lo, exec_lo, s14
	s_and_saveexec_b32 s14, s6
	s_cbranch_execz .LBB2_137
; %bb.136:                              ;   in Loop: Header=BB2_59 Depth=2
	ds_load_b32 v2, v0 offset:784
	s_waitcnt lgkmcnt(0)
	v_and_b32_e32 v2, 15, v2
	s_delay_alu instid0(VALU_DEP_1) | instskip(SKIP_3) | instid1(SALU_CYCLE_1)
	v_cmp_eq_u32_e32 vcc_lo, 0, v2
	s_and_b32 vcc_lo, s13, vcc_lo
	s_and_not1_b32 s13, s13, exec_lo
	s_and_b32 vcc_lo, vcc_lo, exec_lo
	s_or_b32 s13, s13, vcc_lo
.LBB2_137:                              ;   in Loop: Header=BB2_59 Depth=2
	s_or_b32 exec_lo, exec_lo, s14
	v_cmp_eq_u32_e32 vcc_lo, 0, v50
	s_xor_b32 s13, s13, -1
	v_mov_b32_e32 v118, v80
	v_cndmask_b32_e64 v2, 0, 1, s13
	;;#ASMSTART
	;;#ASMEND
	v_cndmask_b32_e32 v9, 0, v8, vcc_lo
	s_delay_alu instid0(VALU_DEP_2) | instskip(SKIP_2) | instid1(VALU_DEP_3)
	v_cmp_ne_u32_e32 vcc_lo, 0, v2
	v_mov_b32_e32 v2, 0
	s_mov_b32 s13, -1
	v_dual_mov_b32 v65, v0 :: v_dual_mov_b32 v64, v9
	s_cbranch_vccnz .LBB2_153
; %bb.138:                              ;   in Loop: Header=BB2_59 Depth=2
	v_ashrrev_i32_e32 v2, 31, v9
	s_mov_b32 s14, exec_lo
	s_delay_alu instid0(VALU_DEP_1) | instskip(NEXT) | instid1(VALU_DEP_1)
	v_lshrrev_b32_e32 v2, 22, v2
	v_add_nc_u32_e32 v2, v9, v2
	s_delay_alu instid0(VALU_DEP_1) | instskip(NEXT) | instid1(VALU_DEP_1)
	v_ashrrev_i32_e32 v2, 10, v2
	v_sub_nc_u32_e32 v66, v2, v80
	s_delay_alu instid0(VALU_DEP_1)
	v_cmpx_lt_i32_e32 0, v66
	s_cbranch_execz .LBB2_143
; %bb.139:                              ;   in Loop: Header=BB2_59 Depth=2
	s_cbranch_execnz .LBB2_1556
; %bb.140:                              ;   in Loop: Header=BB2_59 Depth=2
	ds_load_b64 v[50:51], v0
	v_dual_mov_b32 v53, v35 :: v_dual_mov_b32 v52, v34
	s_mov_b32 s38, 0
.LBB2_141:                              ;   Parent Loop BB2_51 Depth=1
                                        ;     Parent Loop BB2_59 Depth=2
                                        ; =>    This Inner Loop Header: Depth=3
	s_waitcnt lgkmcnt(0)
	s_delay_alu instid0(VALU_DEP_1) | instskip(NEXT) | instid1(VALU_DEP_2)
	v_add_co_u32 v64, vcc_lo, v50, v52
	v_add_co_ci_u32_e32 v65, vcc_lo, v51, v53, vcc_lo
	v_sub_nc_u32_e32 v66, v66, v71
	v_add_co_u32 v52, s13, v52, v84
	s_clause 0x1
	global_load_b128 v[128:131], v[64:65], off slc dlc
	global_load_b128 v[132:135], v[64:65], off offset:512 slc dlc
	v_add_co_ci_u32_e64 v53, s13, v53, v85, s13
	v_cmp_gt_i32_e32 vcc_lo, 1, v66
	s_waitcnt vmcnt(1)
	global_store_b128 v[64:65], v[128:131], off glc slc dlc
	s_waitcnt vmcnt(0)
	global_store_b128 v[64:65], v[132:135], off offset:512 glc slc dlc
	s_or_b32 s38, vcc_lo, s38
	s_delay_alu instid0(SALU_CYCLE_1)
	s_and_not1_b32 exec_lo, exec_lo, s38
	s_cbranch_execnz .LBB2_141
; %bb.142:                              ;   in Loop: Header=BB2_59 Depth=2
	s_or_b32 exec_lo, exec_lo, s38
.LBB2_143:                              ;   in Loop: Header=BB2_59 Depth=2
	s_delay_alu instid0(SALU_CYCLE_1) | instskip(SKIP_4) | instid1(VALU_DEP_2)
	s_or_b32 exec_lo, exec_lo, s14
	v_lshlrev_b32_e32 v52, 10, v2
	v_mov_b32_e32 v2, 0
	s_mov_b32 s13, 0
	s_mov_b32 s38, exec_lo
                                        ; implicit-def: $vgpr64
                                        ; implicit-def: $vgpr65
                                        ; implicit-def: $vgpr118
	v_cmpx_ne_u32_e64 v9, v52
	s_cbranch_execz .LBB2_152
; %bb.144:                              ;   in Loop: Header=BB2_59 Depth=2
	v_lshlrev_b32_e32 v2, 5, v66
	v_sub_nc_u32_e32 v51, v9, v52
	s_mov_b32 s39, exec_lo
	s_delay_alu instid0(VALU_DEP_2) | instskip(NEXT) | instid1(VALU_DEP_2)
	v_sub_nc_u32_e32 v2, v81, v2
	v_ashrrev_i32_e32 v53, 31, v51
	s_delay_alu instid0(VALU_DEP_2) | instskip(NEXT) | instid1(VALU_DEP_2)
	v_ashrrev_i32_e32 v50, 31, v2
	v_lshrrev_b32_e32 v53, 23, v53
	s_delay_alu instid0(VALU_DEP_2) | instskip(NEXT) | instid1(VALU_DEP_2)
	v_lshrrev_b32_e32 v50, 27, v50
	v_add_nc_u32_e32 v65, v51, v53
	s_delay_alu instid0(VALU_DEP_2) | instskip(NEXT) | instid1(VALU_DEP_2)
	v_add_nc_u32_e32 v50, v2, v50
	v_and_b32_e32 v53, 0xfffffe00, v65
	v_ashrrev_i32_e32 v65, 9, v65
	s_delay_alu instid0(VALU_DEP_3) | instskip(NEXT) | instid1(VALU_DEP_3)
	v_and_b32_e32 v64, 0xffffffe0, v50
	v_sub_nc_u32_e32 v67, v51, v53
	v_ashrrev_i32_e32 v50, 5, v50
	s_delay_alu instid0(VALU_DEP_3) | instskip(NEXT) | instid1(VALU_DEP_3)
	v_sub_nc_u32_e32 v66, v2, v64
	v_cmp_lt_i32_e32 vcc_lo, 15, v67
	s_delay_alu instid0(VALU_DEP_2) | instskip(SKIP_1) | instid1(VALU_DEP_2)
	v_lshlrev_b32_e32 v2, 4, v66
	v_add_co_ci_u32_e64 v65, s13, 0, v65, vcc_lo
	v_lshl_add_u32 v64, v50, 9, v2
	s_delay_alu instid0(VALU_DEP_2) | instskip(NEXT) | instid1(VALU_DEP_2)
	v_sub_nc_u32_e32 v119, v65, v50
	v_sub_nc_u32_e32 v2, v51, v64
	s_delay_alu instid0(VALU_DEP_1)
	v_cmpx_lt_i32_e32 15, v2
	s_cbranch_execz .LBB2_149
; %bb.145:                              ;   in Loop: Header=BB2_59 Depth=2
	s_cbranch_execnz .LBB2_1620
; %bb.146:                              ;   in Loop: Header=BB2_59 Depth=2
	ds_load_b64 v[50:51], v0
	v_add_nc_u32_e32 v64, v64, v52
	s_mov_b32 s40, 0
	s_delay_alu instid0(VALU_DEP_1)
	v_ashrrev_i32_e32 v65, 31, v64
.LBB2_147:                              ;   Parent Loop BB2_51 Depth=1
                                        ;     Parent Loop BB2_59 Depth=2
                                        ; =>    This Inner Loop Header: Depth=3
	s_waitcnt lgkmcnt(0)
	v_add_co_u32 v132, s13, v50, v64
	s_delay_alu instid0(VALU_DEP_1)
	v_add_co_ci_u32_e64 v133, s13, v51, v65, s13
	v_sub_nc_u32_e32 v2, v2, v82
	v_add_co_u32 v64, s14, v64, v96
	global_load_b128 v[128:131], v[132:133], off slc dlc
	v_sub_nc_u32_e32 v119, v119, v71
	v_cmp_gt_i32_e64 s13, 16, v2
	v_add_co_ci_u32_e64 v65, s14, v65, v97, s14
	s_delay_alu instid0(VALU_DEP_2)
	s_or_b32 s40, s13, s40
	s_waitcnt vmcnt(0)
	global_store_b128 v[132:133], v[128:131], off glc slc dlc
	s_and_not1_b32 exec_lo, exec_lo, s40
	s_cbranch_execnz .LBB2_147
; %bb.148:                              ;   in Loop: Header=BB2_59 Depth=2
	s_or_b32 exec_lo, exec_lo, s40
.LBB2_149:                              ;   in Loop: Header=BB2_59 Depth=2
	s_delay_alu instid0(SALU_CYCLE_1) | instskip(SKIP_4) | instid1(VALU_DEP_2)
	s_or_b32 exec_lo, exec_lo, s39
	v_and_b32_e32 v50, 15, v9
	v_mov_b32_e32 v2, 0
	s_mov_b32 s14, 0
	s_mov_b32 s39, exec_lo
                                        ; implicit-def: $vgpr65
                                        ; implicit-def: $vgpr118
	v_cndmask_b32_e32 v64, v67, v50, vcc_lo
	s_delay_alu instid0(VALU_DEP_1)
	v_cmpx_ne_u32_e32 0, v64
	s_cbranch_execz .LBB2_151
; %bb.150:                              ;   in Loop: Header=BB2_59 Depth=2
	v_cmp_lt_i32_e64 s13, 0, v119
	v_sub_nc_u32_e32 v50, v67, v50
	s_mov_b32 s14, exec_lo
	s_delay_alu instid0(VALU_DEP_2) | instskip(NEXT) | instid1(VALU_DEP_2)
	v_cndmask_b32_e64 v2, 0, v71, s13
	v_cndmask_b32_e32 v50, 0, v50, vcc_lo
	s_delay_alu instid0(VALU_DEP_2) | instskip(NEXT) | instid1(VALU_DEP_1)
	v_sub_nc_u32_e32 v2, v2, v119
	v_lshl_add_u32 v65, v2, 5, v66
	s_delay_alu instid0(VALU_DEP_1) | instskip(NEXT) | instid1(VALU_DEP_1)
	v_ashrrev_i32_e32 v2, 31, v65
	v_lshrrev_b32_e32 v2, 27, v2
	s_delay_alu instid0(VALU_DEP_1) | instskip(SKIP_1) | instid1(VALU_DEP_2)
	v_add_nc_u32_e32 v51, v65, v2
	v_add3_u32 v2, v53, v52, v50
	v_ashrrev_i32_e32 v118, 5, v51
.LBB2_151:                              ;   in Loop: Header=BB2_59 Depth=2
	s_or_b32 exec_lo, exec_lo, s39
	s_delay_alu instid0(SALU_CYCLE_1)
	s_and_b32 s13, s14, exec_lo
.LBB2_152:                              ;   in Loop: Header=BB2_59 Depth=2
	s_or_b32 exec_lo, exec_lo, s38
.LBB2_153:                              ;   in Loop: Header=BB2_59 Depth=2
	s_and_saveexec_b32 s14, s13
	s_cbranch_execz .LBB2_165
; %bb.154:                              ;   in Loop: Header=BB2_59 Depth=2
	s_delay_alu instid0(VALU_DEP_1) | instskip(SKIP_1) | instid1(VALU_DEP_1)
	v_ashrrev_i32_e32 v50, 31, v64
	s_mov_b32 s13, exec_lo
	v_lshrrev_b32_e32 v50, 24, v50
	s_delay_alu instid0(VALU_DEP_1) | instskip(NEXT) | instid1(VALU_DEP_1)
	v_add_nc_u32_e32 v50, v64, v50
	v_ashrrev_i32_e32 v67, 8, v50
	s_delay_alu instid0(VALU_DEP_1) | instskip(NEXT) | instid1(VALU_DEP_1)
	v_sub_nc_u32_e32 v66, v67, v118
	v_cmpx_lt_i32_e32 0, v66
	s_cbranch_execz .LBB2_159
; %bb.155:                              ;   in Loop: Header=BB2_59 Depth=2
	s_cbranch_execnz .LBB2_1550
; %bb.156:                              ;   in Loop: Header=BB2_59 Depth=2
	v_ashrrev_i32_e32 v50, 31, v65
	s_mov_b32 s38, 0
	s_delay_alu instid0(VALU_DEP_1) | instskip(NEXT) | instid1(VALU_DEP_1)
	v_lshrrev_b32_e32 v50, 27, v50
	v_add_nc_u32_e32 v52, v65, v50
	ds_load_b64 v[50:51], v0
	v_lshlrev_b32_e32 v53, 8, v118
	v_and_b32_e32 v52, 0xffffffe0, v52
	s_delay_alu instid0(VALU_DEP_1) | instskip(NEXT) | instid1(VALU_DEP_1)
	v_sub_nc_u32_e32 v52, v65, v52
	v_add3_u32 v118, v2, v52, v53
	s_delay_alu instid0(VALU_DEP_1)
	v_ashrrev_i32_e32 v119, 31, v118
	s_waitcnt lgkmcnt(0)
	v_dual_mov_b32 v53, v51 :: v_dual_mov_b32 v52, v50
.LBB2_157:                              ;   Parent Loop BB2_51 Depth=1
                                        ;     Parent Loop BB2_59 Depth=2
                                        ; =>    This Inner Loop Header: Depth=3
	s_delay_alu instid0(VALU_DEP_1) | instskip(NEXT) | instid1(VALU_DEP_2)
	v_add_co_u32 v128, vcc_lo, v118, v52
	v_add_co_ci_u32_e32 v129, vcc_lo, v119, v53, vcc_lo
	v_sub_nc_u32_e32 v66, v66, v71
	s_clause 0x7
	flat_load_u8 v130, v[128:129] slc dlc
	flat_load_u8 v131, v[128:129] offset:32 slc dlc
	flat_load_u8 v132, v[128:129] offset:64 slc dlc
	;; [unrolled: 1-line block ×7, first 2 shown]
	v_add_co_u32 v128, vcc_lo, v118, v50
	v_add_co_ci_u32_e32 v129, vcc_lo, v119, v51, vcc_lo
	v_add_co_u32 v52, vcc_lo, v52, v99
	v_add_co_ci_u32_e32 v53, vcc_lo, v53, v100, vcc_lo
	;; [unrolled: 2-line block ×3, first 2 shown]
	v_cmp_gt_i32_e32 vcc_lo, 1, v66
	s_waitcnt vmcnt(7) lgkmcnt(7)
	flat_store_b8 v[128:129], v130 glc slc dlc
	s_waitcnt vmcnt(6) lgkmcnt(7)
	flat_store_b8 v[128:129], v131 offset:32 glc slc dlc
	s_waitcnt vmcnt(5) lgkmcnt(7)
	flat_store_b8 v[128:129], v132 offset:64 glc slc dlc
	s_waitcnt vmcnt(4) lgkmcnt(7)
	flat_store_b8 v[128:129], v133 offset:96 glc slc dlc
	s_waitcnt vmcnt(3) lgkmcnt(7)
	flat_store_b8 v[128:129], v134 offset:128 glc slc dlc
	s_waitcnt vmcnt(2) lgkmcnt(7)
	flat_store_b8 v[128:129], v135 offset:160 glc slc dlc
	s_waitcnt vmcnt(1) lgkmcnt(7)
	flat_store_b8 v[128:129], v144 offset:192 glc slc dlc
	s_waitcnt vmcnt(0) lgkmcnt(7)
	flat_store_b8 v[128:129], v145 offset:224 glc slc dlc
	s_or_b32 s38, vcc_lo, s38
	s_delay_alu instid0(SALU_CYCLE_1)
	s_and_not1_b32 exec_lo, exec_lo, s38
	s_cbranch_execnz .LBB2_157
; %bb.158:                              ;   in Loop: Header=BB2_59 Depth=2
	s_or_b32 exec_lo, exec_lo, s38
.LBB2_159:                              ;   in Loop: Header=BB2_59 Depth=2
	s_delay_alu instid0(SALU_CYCLE_1) | instskip(SKIP_2) | instid1(VALU_DEP_1)
	s_or_b32 exec_lo, exec_lo, s13
	v_lshlrev_b32_e32 v50, 8, v67
	s_mov_b32 s38, exec_lo
	v_cmpx_ne_u32_e64 v64, v50
	s_cbranch_execz .LBB2_164
; %bb.160:                              ;   in Loop: Header=BB2_59 Depth=2
	v_ashrrev_i32_e32 v51, 31, v65
	v_lshlrev_b32_e32 v52, 5, v66
	s_delay_alu instid0(VALU_DEP_2) | instskip(NEXT) | instid1(VALU_DEP_1)
	v_lshrrev_b32_e32 v51, 27, v51
	v_add_nc_u32_e32 v51, v65, v51
	s_delay_alu instid0(VALU_DEP_1) | instskip(NEXT) | instid1(VALU_DEP_1)
	v_and_b32_e32 v51, 0xffffffe0, v51
	v_sub_nc_u32_e32 v51, v65, v51
	s_delay_alu instid0(VALU_DEP_1) | instskip(NEXT) | instid1(VALU_DEP_1)
	v_sub_nc_u32_e32 v51, v51, v52
	v_add_nc_u32_e32 v53, v50, v51
	s_delay_alu instid0(VALU_DEP_1) | instskip(NEXT) | instid1(VALU_DEP_1)
	v_sub_nc_u32_e32 v52, v64, v53
	v_cmp_lt_i32_e32 vcc_lo, 0, v52
	s_and_b32 exec_lo, exec_lo, vcc_lo
	s_cbranch_execz .LBB2_164
; %bb.161:                              ;   in Loop: Header=BB2_59 Depth=2
	s_cbranch_execnz .LBB2_1612
; %bb.162:                              ;   in Loop: Header=BB2_59 Depth=2
	ds_load_b64 v[50:51], v0
	v_add_nc_u32_e32 v2, v53, v2
	s_mov_b32 s39, 0
	s_delay_alu instid0(VALU_DEP_1)
	v_ashrrev_i32_e32 v53, 31, v2
.LBB2_163:                              ;   Parent Loop BB2_51 Depth=1
                                        ;     Parent Loop BB2_59 Depth=2
                                        ; =>    This Inner Loop Header: Depth=3
	s_waitcnt lgkmcnt(0)
	v_add_co_u32 v64, vcc_lo, v50, v2
	s_delay_alu instid0(VALU_DEP_2)
	v_add_co_ci_u32_e32 v65, vcc_lo, v51, v53, vcc_lo
	v_sub_nc_u32_e32 v52, v52, v87
	v_add_co_u32 v2, s13, v2, v102
	flat_load_u8 v66, v[64:65] slc dlc
	v_add_co_ci_u32_e64 v53, s13, v53, v103, s13
	v_cmp_gt_i32_e32 vcc_lo, 1, v52
	s_or_b32 s39, vcc_lo, s39
	s_waitcnt vmcnt(0) lgkmcnt(0)
	flat_store_b8 v[64:65], v66 glc slc dlc
	s_and_not1_b32 exec_lo, exec_lo, s39
	s_cbranch_execnz .LBB2_163
.LBB2_164:                              ;   in Loop: Header=BB2_59 Depth=2
	s_or_b32 exec_lo, exec_lo, s38
.LBB2_165:                              ;   in Loop: Header=BB2_59 Depth=2
	s_delay_alu instid0(SALU_CYCLE_1)
	s_or_b32 exec_lo, exec_lo, s14
	s_mov_b32 s14, s22
	s_mov_b32 s22, vcc_hi
	s_mov_b32 vcc_hi, s37
	s_mov_b32 s13, s36
.LBB2_166:                              ;   in Loop: Header=BB2_59 Depth=2
	s_and_saveexec_b32 s36, s3
	s_cbranch_execz .LBB2_188
; %bb.167:                              ;   in Loop: Header=BB2_59 Depth=2
	s_and_saveexec_b32 vcc_lo, s4
	s_delay_alu instid0(SALU_CYCLE_1)
	s_xor_b32 s37, exec_lo, vcc_lo
	s_cbranch_execz .LBB2_185
; %bb.168:                              ;   in Loop: Header=BB2_59 Depth=2
	s_and_saveexec_b32 s38, s1
	s_cbranch_execz .LBB2_184
; %bb.169:                              ;   in Loop: Header=BB2_59 Depth=2
	s_mov_b32 s40, exec_lo
	s_mov_b32 s39, exec_lo
	v_mbcnt_lo_u32_b32 v2, s40, 0
	s_waitcnt lgkmcnt(0)
	s_waitcnt_vscnt null, 0x0
	buffer_gl1_inv
	buffer_gl0_inv
	v_cmpx_eq_u32_e32 0, v2
	s_cbranch_execz .LBB2_171
; %bb.170:                              ;   in Loop: Header=BB2_59 Depth=2
	s_bcnt1_i32_b32 vcc_lo, s40
	s_delay_alu instid0(SALU_CYCLE_1)
	v_mov_b32_e32 v2, vcc_lo
	ds_add_u64 v0, v[2:3]
	s_cbranch_execnz .LBB2_1586
.LBB2_171:                              ;   in Loop: Header=BB2_59 Depth=2
	s_or_b32 exec_lo, exec_lo, s39
	s_cbranch_execnz .LBB2_1564
; %bb.172:                              ;   in Loop: Header=BB2_59 Depth=2
	ds_load_b64 v[50:51], v0
	v_add_co_u32 v12, vcc_lo, v12, v71
	v_add_co_ci_u32_e32 v13, vcc_lo, 0, v13, vcc_lo
	s_mov_b32 s39, exec_lo
	s_waitcnt lgkmcnt(0)
	s_delay_alu instid0(VALU_DEP_1)
	v_cmpx_lt_u64_e64 v[50:51], v[12:13]
	s_cbranch_execz .LBB2_183
; %bb.173:                              ;   in Loop: Header=BB2_59 Depth=2
	s_mov_b32 s40, 0
	s_mov_b32 s43, 0
                                        ; implicit-def: $sgpr41
                                        ; implicit-def: $sgpr42
	s_branch .LBB2_175
.LBB2_174:                              ;   in Loop: Header=BB2_175 Depth=3
	s_or_b32 exec_lo, exec_lo, s45
	s_delay_alu instid0(SALU_CYCLE_1) | instskip(NEXT) | instid1(SALU_CYCLE_1)
	s_and_b32 vcc_lo, exec_lo, vcc_lo
	s_or_b32 s40, vcc_lo, s40
	s_and_not1_b32 vcc_lo, s41, exec_lo
	s_and_b32 s41, s42, exec_lo
	s_delay_alu instid0(SALU_CYCLE_1)
	s_or_b32 s41, vcc_lo, s41
	s_and_not1_b32 exec_lo, exec_lo, s40
	s_cbranch_execz .LBB2_181
.LBB2_175:                              ;   Parent Loop BB2_51 Depth=1
                                        ;     Parent Loop BB2_59 Depth=2
                                        ; =>    This Inner Loop Header: Depth=3
	s_add_i32 s43, s43, 1
                                        ; implicit-def: $sgpr45
	s_delay_alu instid0(SALU_CYCLE_1) | instskip(SKIP_1) | instid1(SALU_CYCLE_1)
	s_cmpk_lg_i32 s43, 0x2710
	s_cselect_b32 s44, -1, 0
	s_and_b32 vcc_lo, exec_lo, s44
	s_cbranch_vccz .LBB2_179
.LBB2_176:                              ;   in Loop: Header=BB2_175 Depth=3
	s_and_not1_b32 s42, s42, exec_lo
	s_and_b32 s45, s45, exec_lo
	s_mov_b32 vcc_lo, -1
	s_or_b32 s42, s42, s45
	s_and_saveexec_b32 s45, s44
	s_cbranch_execz .LBB2_174
; %bb.177:                              ;   in Loop: Header=BB2_175 Depth=3
	s_sleep 1
	s_cbranch_execnz .LBB2_1638
; %bb.178:                              ;   in Loop: Header=BB2_175 Depth=3
	ds_load_b64 v[50:51], v0
	s_and_not1_b32 s42, s42, exec_lo
	s_waitcnt lgkmcnt(0)
	v_cmp_ge_u64_e32 vcc_lo, v[50:51], v[12:13]
	s_or_not1_b32 vcc_lo, vcc_lo, exec_lo
	s_branch .LBB2_174
.LBB2_179:                              ;   in Loop: Header=BB2_175 Depth=3
	s_cbranch_execnz .LBB2_1648
; %bb.180:                              ;   in Loop: Header=BB2_175 Depth=3
	ds_load_b64 v[50:51], v0
	s_and_not1_b32 s44, s44, exec_lo
	s_mov_b32 s43, 0
	s_mov_b32 s45, -1
	s_waitcnt lgkmcnt(0)
	flat_load_b32 v2, v[50:51] glc
	s_waitcnt vmcnt(0) lgkmcnt(0)
	buffer_gl1_inv
	buffer_gl0_inv
	v_cmp_eq_u32_e32 vcc_lo, 0, v2
	s_and_b32 vcc_lo, vcc_lo, exec_lo
	s_delay_alu instid0(SALU_CYCLE_1)
	s_or_b32 s44, s44, vcc_lo
	s_branch .LBB2_176
.LBB2_181:                              ;   in Loop: Header=BB2_59 Depth=2
	s_or_b32 exec_lo, exec_lo, s40
	s_and_saveexec_b32 vcc_lo, s41
	s_delay_alu instid0(SALU_CYCLE_1)
	s_xor_b32 vcc_lo, exec_lo, vcc_lo
	s_cbranch_execz .LBB2_183
; %bb.182:                              ;   in Loop: Header=BB2_59 Depth=2
	ds_store_b32 v0, v115
	s_cbranch_execnz .LBB2_1862
.LBB2_183:                              ;   in Loop: Header=BB2_59 Depth=2
	s_or_b32 exec_lo, exec_lo, s39
	;;#ASMSTART
	s_wakeup
	;;#ASMEND
.LBB2_184:                              ;   in Loop: Header=BB2_59 Depth=2
	s_or_b32 exec_lo, exec_lo, s38
.LBB2_185:                              ;   in Loop: Header=BB2_59 Depth=2
	s_and_not1_saveexec_b32 vcc_lo, s37
	s_cbranch_execz .LBB2_187
; %bb.186:                              ;   in Loop: Header=BB2_59 Depth=2
	s_waitcnt lgkmcnt(0)
	s_waitcnt_vscnt null, 0x0
	buffer_gl1_inv
	buffer_gl0_inv
	s_barrier
.LBB2_187:                              ;   in Loop: Header=BB2_59 Depth=2
	s_or_b32 exec_lo, exec_lo, vcc_lo
.LBB2_188:                              ;   in Loop: Header=BB2_59 Depth=2
	s_delay_alu instid0(SALU_CYCLE_1) | instskip(SKIP_1) | instid1(SALU_CYCLE_1)
	s_or_b32 exec_lo, exec_lo, s36
                                        ; implicit-def: $vgpr2
	s_and_saveexec_b32 vcc_lo, s7
	s_xor_b32 s36, exec_lo, vcc_lo
	s_cbranch_execz .LBB2_192
; %bb.189:                              ;   in Loop: Header=BB2_59 Depth=2
	v_and_b32_e32 v2, 16, v30
	s_mov_b32 s37, s13
	v_cmp_lt_i32_e32 vcc_lo, 0, v9
	s_delay_alu instid0(VALU_DEP_2) | instskip(SKIP_1) | instid1(VALU_DEP_2)
	v_cmp_ne_u32_e64 s13, 0, v2
	v_and_b32_e32 v2, 16, v30
	s_and_b32 vcc_lo, s13, vcc_lo
	s_delay_alu instid0(SALU_CYCLE_1)
	s_and_saveexec_b32 s13, vcc_lo
	s_cbranch_execz .LBB2_191
; %bb.190:                              ;   in Loop: Header=BB2_59 Depth=2
	v_mov_b32_e32 v2, 1
	s_waitcnt lgkmcnt(0)
	s_waitcnt_vscnt null, 0x0
	buffer_gl1_inv
	buffer_gl0_inv
.LBB2_191:                              ;   in Loop: Header=BB2_59 Depth=2
	s_or_b32 exec_lo, exec_lo, s13
	s_mov_b32 s13, s37
.LBB2_192:                              ;   in Loop: Header=BB2_59 Depth=2
	s_and_not1_saveexec_b32 s36, s36
	s_cbranch_execz .LBB2_214
; %bb.193:                              ;   in Loop: Header=BB2_59 Depth=2
	s_and_saveexec_b32 vcc_lo, s4
	s_delay_alu instid0(SALU_CYCLE_1)
	s_xor_b32 s37, exec_lo, vcc_lo
	s_cbranch_execz .LBB2_211
; %bb.194:                              ;   in Loop: Header=BB2_59 Depth=2
	s_and_saveexec_b32 s38, s1
	s_cbranch_execz .LBB2_210
; %bb.195:                              ;   in Loop: Header=BB2_59 Depth=2
	s_mov_b32 s40, exec_lo
	s_mov_b32 s39, exec_lo
	v_mbcnt_lo_u32_b32 v2, s40, 0
	;;#ASMSTART
	s_waitcnt lgkmcnt(0) vmcnt(0)
	;;#ASMEND
	s_delay_alu instid0(VALU_DEP_1)
	v_cmpx_eq_u32_e32 0, v2
	s_cbranch_execz .LBB2_197
; %bb.196:                              ;   in Loop: Header=BB2_59 Depth=2
	s_bcnt1_i32_b32 vcc_lo, s40
	s_delay_alu instid0(SALU_CYCLE_1)
	v_mov_b32_e32 v2, vcc_lo
	ds_add_u64 v0, v[2:3]
	s_cbranch_execnz .LBB2_1594
.LBB2_197:                              ;   in Loop: Header=BB2_59 Depth=2
	s_or_b32 exec_lo, exec_lo, s39
	s_cbranch_execnz .LBB2_1570
; %bb.198:                              ;   in Loop: Header=BB2_59 Depth=2
	ds_load_b64 v[50:51], v0
	v_add_co_u32 v12, vcc_lo, v12, v71
	v_add_co_ci_u32_e32 v13, vcc_lo, 0, v13, vcc_lo
	s_mov_b32 s39, exec_lo
	s_waitcnt lgkmcnt(0)
	s_delay_alu instid0(VALU_DEP_1)
	v_cmpx_lt_u64_e64 v[50:51], v[12:13]
	s_cbranch_execz .LBB2_209
; %bb.199:                              ;   in Loop: Header=BB2_59 Depth=2
	s_mov_b32 s40, 0
	s_mov_b32 s43, 0
                                        ; implicit-def: $sgpr41
                                        ; implicit-def: $sgpr42
	s_branch .LBB2_201
.LBB2_200:                              ;   in Loop: Header=BB2_201 Depth=3
	s_or_b32 exec_lo, exec_lo, s45
	s_delay_alu instid0(SALU_CYCLE_1) | instskip(NEXT) | instid1(SALU_CYCLE_1)
	s_and_b32 vcc_lo, exec_lo, vcc_lo
	s_or_b32 s40, vcc_lo, s40
	s_and_not1_b32 vcc_lo, s41, exec_lo
	s_and_b32 s41, s42, exec_lo
	s_delay_alu instid0(SALU_CYCLE_1)
	s_or_b32 s41, vcc_lo, s41
	s_and_not1_b32 exec_lo, exec_lo, s40
	s_cbranch_execz .LBB2_207
.LBB2_201:                              ;   Parent Loop BB2_51 Depth=1
                                        ;     Parent Loop BB2_59 Depth=2
                                        ; =>    This Inner Loop Header: Depth=3
	s_add_i32 s43, s43, 1
                                        ; implicit-def: $sgpr45
	s_delay_alu instid0(SALU_CYCLE_1) | instskip(SKIP_1) | instid1(SALU_CYCLE_1)
	s_cmpk_lg_i32 s43, 0x2710
	s_cselect_b32 s44, -1, 0
	s_and_b32 vcc_lo, exec_lo, s44
	s_cbranch_vccz .LBB2_205
.LBB2_202:                              ;   in Loop: Header=BB2_201 Depth=3
	s_and_not1_b32 s42, s42, exec_lo
	s_and_b32 s45, s45, exec_lo
	s_mov_b32 vcc_lo, -1
	s_or_b32 s42, s42, s45
	s_and_saveexec_b32 s45, s44
	s_cbranch_execz .LBB2_200
; %bb.203:                              ;   in Loop: Header=BB2_201 Depth=3
	s_sleep 1
	s_cbranch_execnz .LBB2_1642
; %bb.204:                              ;   in Loop: Header=BB2_201 Depth=3
	ds_load_b64 v[50:51], v0
	s_and_not1_b32 s42, s42, exec_lo
	s_waitcnt lgkmcnt(0)
	v_cmp_ge_u64_e32 vcc_lo, v[50:51], v[12:13]
	s_or_not1_b32 vcc_lo, vcc_lo, exec_lo
	s_branch .LBB2_200
.LBB2_205:                              ;   in Loop: Header=BB2_201 Depth=3
	s_cbranch_execnz .LBB2_1662
; %bb.206:                              ;   in Loop: Header=BB2_201 Depth=3
	ds_load_b64 v[50:51], v0
	s_and_not1_b32 s44, s44, exec_lo
	s_mov_b32 s43, 0
	s_mov_b32 s45, -1
	s_waitcnt lgkmcnt(0)
	s_waitcnt_vscnt null, 0x0
	flat_load_b32 v2, v[50:51] glc
	s_waitcnt vmcnt(0) lgkmcnt(0)
	buffer_gl1_inv
	buffer_gl0_inv
	v_cmp_eq_u32_e32 vcc_lo, 0, v2
	s_and_b32 vcc_lo, vcc_lo, exec_lo
	s_delay_alu instid0(SALU_CYCLE_1)
	s_or_b32 s44, s44, vcc_lo
	s_branch .LBB2_202
.LBB2_207:                              ;   in Loop: Header=BB2_59 Depth=2
	s_or_b32 exec_lo, exec_lo, s40
	s_and_saveexec_b32 vcc_lo, s41
	s_delay_alu instid0(SALU_CYCLE_1)
	s_xor_b32 vcc_lo, exec_lo, vcc_lo
	s_cbranch_execz .LBB2_209
; %bb.208:                              ;   in Loop: Header=BB2_59 Depth=2
	ds_store_b32 v0, v115
	s_cbranch_execnz .LBB2_1866
.LBB2_209:                              ;   in Loop: Header=BB2_59 Depth=2
	s_or_b32 exec_lo, exec_lo, s39
	;;#ASMSTART
	s_wakeup
	;;#ASMEND
.LBB2_210:                              ;   in Loop: Header=BB2_59 Depth=2
	s_or_b32 exec_lo, exec_lo, s38
.LBB2_211:                              ;   in Loop: Header=BB2_59 Depth=2
	s_and_not1_saveexec_b32 vcc_lo, s37
	s_cbranch_execz .LBB2_213
; %bb.212:                              ;   in Loop: Header=BB2_59 Depth=2
	;;#ASMSTART
	s_waitcnt lgkmcnt(0) vmcnt(0)
	;;#ASMEND
	s_waitcnt lgkmcnt(0)
	s_waitcnt_vscnt null, 0x0
	s_barrier
.LBB2_213:                              ;   in Loop: Header=BB2_59 Depth=2
	s_or_b32 exec_lo, exec_lo, vcc_lo
	v_and_b32_e32 v2, 16, v30
.LBB2_214:                              ;   in Loop: Header=BB2_59 Depth=2
	s_or_b32 exec_lo, exec_lo, s36
	s_delay_alu instid0(SALU_CYCLE_1) | instskip(NEXT) | instid1(VALU_DEP_1)
	s_mov_b32 s36, exec_lo
	v_cmpx_ne_u32_e32 0, v2
	s_cbranch_execz .LBB2_218
; %bb.215:                              ;   in Loop: Header=BB2_59 Depth=2
	s_and_saveexec_b32 vcc_lo, s11
	s_cbranch_execz .LBB2_217
; %bb.216:                              ;   in Loop: Header=BB2_59 Depth=2
	s_waitcnt lgkmcnt(0)
	s_waitcnt_vscnt null, 0x0
	flat_store_b32 v[26:27], v115
.LBB2_217:                              ;   in Loop: Header=BB2_59 Depth=2
	s_or_b32 exec_lo, exec_lo, vcc_lo
	v_add_co_u32 v22, vcc_lo, v22, 2
	v_add_co_ci_u32_e32 v23, vcc_lo, 0, v23, vcc_lo
	s_waitcnt lgkmcnt(0)
	s_waitcnt_vscnt null, 0x0
	flat_store_b64 v[20:21], v[22:23]
.LBB2_218:                              ;   in Loop: Header=BB2_59 Depth=2
	s_or_b32 exec_lo, exec_lo, s36
	v_dual_mov_b32 v2, s13 :: v_dual_add_nc_u32 v55, v8, v55
	s_xor_b32 s17, s17, -1
	s_mov_b32 s13, 2
	s_delay_alu instid0(VALU_DEP_1) | instskip(SKIP_1) | instid1(SALU_CYCLE_1)
	v_cmp_ge_i32_e32 vcc_lo, v55, v54
	s_or_b32 s17, s17, vcc_lo
	s_and_b32 s17, exec_lo, s17
	s_delay_alu instid0(SALU_CYCLE_1)
	s_or_b32 s16, s17, s16
	s_mov_b32 s17, 0
	s_and_not1_b32 exec_lo, exec_lo, s16
	s_cbranch_execnz .LBB2_59
; %bb.219:                              ;   in Loop: Header=BB2_51 Depth=1
	s_or_b32 exec_lo, exec_lo, s16
.LBB2_220:                              ;   in Loop: Header=BB2_51 Depth=1
	s_delay_alu instid0(SALU_CYCLE_1) | instskip(NEXT) | instid1(SALU_CYCLE_1)
	s_or_b32 exec_lo, exec_lo, s15
	s_mov_b32 s15, exec_lo
	v_cmpx_gt_i32_e32 2, v2
	s_cbranch_execz .LBB2_301
; %bb.221:                              ;   in Loop: Header=BB2_51 Depth=1
	v_cmp_eq_u32_e64 s13, 0, v2
	s_mov_b32 s16, 0
.LBB2_222:                              ;   Parent Loop BB2_51 Depth=1
                                        ; =>  This Loop Header: Depth=2
                                        ;       Child Loop BB2_228 Depth 3
                                        ;       Child Loop BB2_255 Depth 3
	;; [unrolled: 1-line block ×3, first 2 shown]
	v_and_b32_e32 v2, 8, v30
	s_mov_b32 s36, -1
	s_mov_b32 s17, exec_lo
	s_delay_alu instid0(VALU_DEP_1)
	v_cmpx_ne_u32_e32 0, v2
	s_cbranch_execz .LBB2_236
; %bb.223:                              ;   in Loop: Header=BB2_222 Depth=2
	v_add_co_u32 v50, vcc_lo, v28, 8
	v_add_co_ci_u32_e32 v51, vcc_lo, 0, v29, vcc_lo
	v_add_co_u32 v9, vcc_lo, v22, 2
	v_add_co_ci_u32_e32 v10, vcc_lo, 0, v23, vcc_lo
	v_mov_b32_e32 v2, 1
	s_mov_b32 s36, exec_lo
	s_delay_alu instid0(VALU_DEP_2)
	v_cmpx_lt_u64_e64 v[50:51], v[9:10]
	s_cbranch_execz .LBB2_235
; %bb.224:                              ;   in Loop: Header=BB2_222 Depth=2
	v_mov_b32_e32 v2, 0
	s_mov_b32 s37, 0
                                        ; implicit-def: $sgpr38
	s_branch .LBB2_228
.LBB2_225:                              ;   in Loop: Header=BB2_228 Depth=3
	s_or_b32 exec_lo, exec_lo, s42
	v_mov_b32_e32 v11, 0
	s_or_not1_b32 s41, s41, exec_lo
.LBB2_226:                              ;   in Loop: Header=BB2_228 Depth=3
	s_or_b32 exec_lo, exec_lo, s40
	s_delay_alu instid0(VALU_DEP_1) | instskip(SKIP_2) | instid1(SALU_CYCLE_1)
	v_mov_b32_e32 v2, v11
	s_and_not1_b32 vcc_lo, s38, exec_lo
	s_and_b32 s38, s41, exec_lo
	s_or_b32 s38, vcc_lo, s38
.LBB2_227:                              ;   in Loop: Header=BB2_228 Depth=3
	s_or_b32 exec_lo, exec_lo, s39
	s_waitcnt vmcnt(0) lgkmcnt(0)
	v_add_co_u32 v50, vcc_lo, v28, 8
	v_add_co_ci_u32_e32 v51, vcc_lo, 0, v29, vcc_lo
	s_xor_b32 s39, s38, -1
	s_delay_alu instid0(VALU_DEP_1) | instskip(SKIP_1) | instid1(SALU_CYCLE_1)
	v_cmp_ge_u64_e32 vcc_lo, v[50:51], v[9:10]
	s_or_b32 vcc_lo, s39, vcc_lo
	s_and_b32 vcc_lo, exec_lo, vcc_lo
	s_delay_alu instid0(SALU_CYCLE_1) | instskip(NEXT) | instid1(SALU_CYCLE_1)
	s_or_b32 s37, vcc_lo, s37
	s_and_not1_b32 exec_lo, exec_lo, s37
	s_cbranch_execz .LBB2_234
.LBB2_228:                              ;   Parent Loop BB2_51 Depth=1
                                        ;     Parent Loop BB2_222 Depth=2
                                        ; =>    This Inner Loop Header: Depth=3
	s_sleep 1
	flat_load_b64 v[28:29], v[20:21] glc
	v_and_b32_e32 v11, 64, v30
	s_and_not1_b32 s38, s38, exec_lo
	s_mov_b32 s39, exec_lo
	s_delay_alu instid0(VALU_DEP_1)
	v_cmpx_eq_u32_e32 0, v11
	s_cbranch_execz .LBB2_227
; %bb.229:                              ;   in Loop: Header=BB2_228 Depth=3
	v_add_nc_u32_e32 v11, 1, v2
	s_mov_b32 s41, -1
	s_mov_b32 s40, exec_lo
	v_cmpx_lt_i32_e32 0x270e, v2
	s_cbranch_execz .LBB2_226
; %bb.230:                              ;   in Loop: Header=BB2_228 Depth=3
	s_cbranch_execnz .LBB2_1469
; %bb.231:                              ;   in Loop: Header=BB2_228 Depth=3
	ds_load_b64 v[50:51], v0
	s_mov_b32 s42, exec_lo
	s_waitcnt vmcnt(0) lgkmcnt(0)
	s_waitcnt_vscnt null, 0x0
	flat_load_b32 v2, v[50:51] glc
	s_waitcnt vmcnt(0) lgkmcnt(0)
	buffer_gl1_inv
	buffer_gl0_inv
	v_cmpx_ne_u32_e32 0, v2
	s_cbranch_execz .LBB2_225
; %bb.232:                              ;   in Loop: Header=BB2_228 Depth=3
	ds_store_b32 v0, v2
	s_cbranch_execnz .LBB2_1481
; %bb.233:                              ;   in Loop: Header=BB2_228 Depth=3
	v_or_b32_e32 v30, 64, v30
	s_xor_b32 s41, exec_lo, -1
	s_branch .LBB2_225
.LBB2_234:                              ;   in Loop: Header=BB2_222 Depth=2
	s_or_b32 exec_lo, exec_lo, s37
	v_and_b32_e32 v2, 8, v30
.LBB2_235:                              ;   in Loop: Header=BB2_222 Depth=2
	s_or_b32 exec_lo, exec_lo, s36
	s_delay_alu instid0(VALU_DEP_1)
	v_cmp_eq_u32_e32 vcc_lo, 0, v2
	;;#ASMSTART
	s_wakeup
	;;#ASMEND
	s_or_not1_b32 s36, vcc_lo, exec_lo
.LBB2_236:                              ;   in Loop: Header=BB2_222 Depth=2
	s_or_b32 exec_lo, exec_lo, s17
	v_sub_nc_u32_e32 v2, v54, v55
	s_xor_b32 s13, s13, -1
	s_delay_alu instid0(SALU_CYCLE_1) | instskip(NEXT) | instid1(SALU_CYCLE_1)
	s_and_b32 s13, exec_lo, s13
	s_or_b32 s16, s13, s16
	s_delay_alu instid0(VALU_DEP_1) | instskip(SKIP_1) | instid1(SALU_CYCLE_1)
	v_min_i32_e32 v8, v8, v2
	s_xor_b32 s13, s36, -1
	s_and_saveexec_b32 s17, s13
	s_cbranch_execz .LBB2_246
; %bb.237:                              ;   in Loop: Header=BB2_222 Depth=2
	v_and_b32_e32 v2, 0x100, v30
	s_mov_b32 s13, -1
                                        ; implicit-def: $vgpr9_vgpr10
	s_delay_alu instid0(VALU_DEP_1)
	v_cmp_ne_u32_e32 vcc_lo, 0, v2
	v_and_b32_e32 v2, 7, v22
	s_and_saveexec_b32 s36, vcc_lo
	s_cbranch_execz .LBB2_241
; %bb.238:                              ;   in Loop: Header=BB2_222 Depth=2
	s_delay_alu instid0(VALU_DEP_1)
	v_mad_u64_u32 v[50:51], null, v2, 24, v[6:7]
	v_ashrrev_i32_e32 v9, 31, v8
	flat_load_b32 v10, v[50:51]
	flat_store_b64 v[50:51], v[8:9] offset:8
	s_waitcnt vmcnt(0) lgkmcnt(1)
	v_cmp_ne_u32_e32 vcc_lo, 1, v10
	v_cmp_eq_u32_e64 s13, 1, v10
                                        ; implicit-def: $vgpr9_vgpr10
	s_delay_alu instid0(VALU_DEP_1)
	s_and_saveexec_b32 s37, s13
	s_cbranch_execz .LBB2_240
; %bb.239:                              ;   in Loop: Header=BB2_222 Depth=2
	flat_load_b32 v9, v[50:51] offset:4 glc
	s_waitcnt vmcnt(0) lgkmcnt(0)
	v_ashrrev_i32_e32 v10, 31, v9
.LBB2_240:                              ;   in Loop: Header=BB2_222 Depth=2
	s_or_b32 exec_lo, exec_lo, s37
	s_delay_alu instid0(SALU_CYCLE_1)
	s_or_not1_b32 s13, vcc_lo, exec_lo
.LBB2_241:                              ;   in Loop: Header=BB2_222 Depth=2
	s_or_b32 exec_lo, exec_lo, s36
	s_and_saveexec_b32 vcc_lo, s13
; %bb.242:                              ;   in Loop: Header=BB2_222 Depth=2
	v_mad_i64_i32 v[9:10], null, v2, v68, 0
; %bb.243:                              ;   in Loop: Header=BB2_222 Depth=2
	s_or_b32 exec_lo, exec_lo, vcc_lo
	s_delay_alu instid0(VALU_DEP_1) | instskip(SKIP_1) | instid1(VALU_DEP_3)
	v_add_co_u32 v9, vcc_lo, v24, v9
	v_and_b32_e32 v2, 0x2000, v30
	v_add_co_ci_u32_e32 v10, vcc_lo, v25, v10, vcc_lo
	s_mov_b32 s13, exec_lo
	ds_store_b64 v0, v[9:10] offset:784
	v_cmpx_ne_u32_e32 0, v2
	s_cbranch_execz .LBB2_245
; %bb.244:                              ;   in Loop: Header=BB2_222 Depth=2
	ds_load_b64 v[9:10], v0 offset:584
	s_waitcnt lgkmcnt(0)
	v_add_co_u32 v9, vcc_lo, v9, 1
	v_add_co_ci_u32_e32 v10, vcc_lo, 0, v10, vcc_lo
	ds_store_b64 v0, v[9:10] offset:584
.LBB2_245:                              ;   in Loop: Header=BB2_222 Depth=2
	s_or_b32 exec_lo, exec_lo, s13
	v_add_co_u32 v22, vcc_lo, v22, 2
	v_add_co_ci_u32_e32 v23, vcc_lo, 0, v23, vcc_lo
.LBB2_246:                              ;   in Loop: Header=BB2_222 Depth=2
	s_or_b32 exec_lo, exec_lo, s17
	s_and_saveexec_b32 s13, s3
	s_cbranch_execz .LBB2_268
; %bb.247:                              ;   in Loop: Header=BB2_222 Depth=2
	s_and_saveexec_b32 s17, s4
	s_delay_alu instid0(SALU_CYCLE_1)
	s_xor_b32 s17, exec_lo, s17
	s_cbranch_execz .LBB2_265
; %bb.248:                              ;   in Loop: Header=BB2_222 Depth=2
	s_and_saveexec_b32 s36, s1
	s_cbranch_execz .LBB2_264
; %bb.249:                              ;   in Loop: Header=BB2_222 Depth=2
	s_mov_b32 s38, exec_lo
	s_mov_b32 s37, exec_lo
	v_mbcnt_lo_u32_b32 v2, s38, 0
	s_waitcnt lgkmcnt(0)
	s_waitcnt_vscnt null, 0x0
	buffer_gl1_inv
	buffer_gl0_inv
	v_cmpx_eq_u32_e32 0, v2
	s_cbranch_execz .LBB2_251
; %bb.250:                              ;   in Loop: Header=BB2_222 Depth=2
	s_bcnt1_i32_b32 vcc_lo, s38
	s_delay_alu instid0(SALU_CYCLE_1)
	v_mov_b32_e32 v2, vcc_lo
	ds_add_u64 v0, v[2:3]
	s_cbranch_execnz .LBB2_1512
.LBB2_251:                              ;   in Loop: Header=BB2_222 Depth=2
	s_or_b32 exec_lo, exec_lo, s37
	s_cbranch_execnz .LBB2_1494
; %bb.252:                              ;   in Loop: Header=BB2_222 Depth=2
	ds_load_b64 v[9:10], v0
	v_add_co_u32 v12, vcc_lo, v12, v71
	v_add_co_ci_u32_e32 v13, vcc_lo, 0, v13, vcc_lo
	s_mov_b32 s37, exec_lo
	s_waitcnt lgkmcnt(0)
	s_delay_alu instid0(VALU_DEP_1)
	v_cmpx_lt_u64_e64 v[9:10], v[12:13]
	s_cbranch_execz .LBB2_263
; %bb.253:                              ;   in Loop: Header=BB2_222 Depth=2
	s_mov_b32 s38, 0
	s_mov_b32 s41, 0
                                        ; implicit-def: $sgpr39
                                        ; implicit-def: $sgpr40
	s_branch .LBB2_255
.LBB2_254:                              ;   in Loop: Header=BB2_255 Depth=3
	s_or_b32 exec_lo, exec_lo, s43
	s_delay_alu instid0(SALU_CYCLE_1) | instskip(NEXT) | instid1(SALU_CYCLE_1)
	s_and_b32 vcc_lo, exec_lo, vcc_lo
	s_or_b32 s38, vcc_lo, s38
	s_and_not1_b32 vcc_lo, s39, exec_lo
	s_and_b32 s39, s40, exec_lo
	s_delay_alu instid0(SALU_CYCLE_1)
	s_or_b32 s39, vcc_lo, s39
	s_and_not1_b32 exec_lo, exec_lo, s38
	s_cbranch_execz .LBB2_261
.LBB2_255:                              ;   Parent Loop BB2_51 Depth=1
                                        ;     Parent Loop BB2_222 Depth=2
                                        ; =>    This Inner Loop Header: Depth=3
	s_add_i32 s41, s41, 1
                                        ; implicit-def: $sgpr43
	s_delay_alu instid0(SALU_CYCLE_1) | instskip(SKIP_1) | instid1(SALU_CYCLE_1)
	s_cmpk_lg_i32 s41, 0x2710
	s_cselect_b32 s42, -1, 0
	s_and_b32 vcc_lo, exec_lo, s42
	s_cbranch_vccz .LBB2_259
.LBB2_256:                              ;   in Loop: Header=BB2_255 Depth=3
	s_and_not1_b32 s40, s40, exec_lo
	s_and_b32 s43, s43, exec_lo
	s_mov_b32 vcc_lo, -1
	s_or_b32 s40, s40, s43
	s_and_saveexec_b32 s43, s42
	s_cbranch_execz .LBB2_254
; %bb.257:                              ;   in Loop: Header=BB2_255 Depth=3
	s_sleep 1
	s_cbranch_execnz .LBB2_1542
; %bb.258:                              ;   in Loop: Header=BB2_255 Depth=3
	ds_load_b64 v[9:10], v0
	s_and_not1_b32 s40, s40, exec_lo
	s_waitcnt lgkmcnt(0)
	v_cmp_ge_u64_e32 vcc_lo, v[9:10], v[12:13]
	s_or_not1_b32 vcc_lo, vcc_lo, exec_lo
	s_branch .LBB2_254
.LBB2_259:                              ;   in Loop: Header=BB2_255 Depth=3
	s_cbranch_execnz .LBB2_1548
; %bb.260:                              ;   in Loop: Header=BB2_255 Depth=3
	ds_load_b64 v[9:10], v0
	s_and_not1_b32 s42, s42, exec_lo
	s_mov_b32 s41, 0
	s_mov_b32 s43, -1
	s_waitcnt lgkmcnt(0)
	flat_load_b32 v2, v[9:10] glc
	s_waitcnt vmcnt(0) lgkmcnt(0)
	buffer_gl1_inv
	buffer_gl0_inv
	v_cmp_eq_u32_e32 vcc_lo, 0, v2
	s_and_b32 vcc_lo, vcc_lo, exec_lo
	s_delay_alu instid0(SALU_CYCLE_1)
	s_or_b32 s42, s42, vcc_lo
	s_branch .LBB2_256
.LBB2_261:                              ;   in Loop: Header=BB2_222 Depth=2
	s_or_b32 exec_lo, exec_lo, s38
	s_and_saveexec_b32 vcc_lo, s39
	s_delay_alu instid0(SALU_CYCLE_1)
	s_xor_b32 vcc_lo, exec_lo, vcc_lo
	s_cbranch_execz .LBB2_263
; %bb.262:                              ;   in Loop: Header=BB2_222 Depth=2
	ds_store_b32 v0, v115
	s_cbranch_execnz .LBB2_1760
.LBB2_263:                              ;   in Loop: Header=BB2_222 Depth=2
	s_or_b32 exec_lo, exec_lo, s37
	;;#ASMSTART
	s_wakeup
	;;#ASMEND
.LBB2_264:                              ;   in Loop: Header=BB2_222 Depth=2
	s_or_b32 exec_lo, exec_lo, s36
.LBB2_265:                              ;   in Loop: Header=BB2_222 Depth=2
	s_and_not1_saveexec_b32 s17, s17
	s_cbranch_execz .LBB2_267
; %bb.266:                              ;   in Loop: Header=BB2_222 Depth=2
	s_waitcnt lgkmcnt(0)
	s_waitcnt_vscnt null, 0x0
	buffer_gl1_inv
	buffer_gl0_inv
	s_barrier
.LBB2_267:                              ;   in Loop: Header=BB2_222 Depth=2
	s_or_b32 exec_lo, exec_lo, s17
.LBB2_268:                              ;   in Loop: Header=BB2_222 Depth=2
	s_delay_alu instid0(SALU_CYCLE_1) | instskip(SKIP_1) | instid1(SALU_CYCLE_1)
	s_or_b32 exec_lo, exec_lo, s13
                                        ; implicit-def: $vgpr2
	s_and_saveexec_b32 s13, s7
	s_xor_b32 s17, exec_lo, s13
	s_cbranch_execz .LBB2_273
; %bb.269:                              ;   in Loop: Header=BB2_222 Depth=2
	s_cbranch_execnz .LBB2_1467
; %bb.270:                              ;   in Loop: Header=BB2_222 Depth=2
	ds_load_b32 v2, v0
	v_cmp_lt_i32_e32 vcc_lo, 0, v8
	s_waitcnt lgkmcnt(0)
	v_readfirstlane_b32 s13, v2
	v_and_b32_e32 v2, 16, v30
	s_delay_alu instid0(VALU_DEP_2) | instskip(NEXT) | instid1(VALU_DEP_1)
	s_cmp_eq_u32 s13, 0
	v_cmp_ne_u32_e64 s13, 0, v2
	s_cselect_b32 s36, -1, 0
	v_and_b32_e32 v2, 16, v30
	s_and_b32 vcc_lo, vcc_lo, s36
	s_delay_alu instid0(VALU_DEP_2) | instid1(SALU_CYCLE_1)
	s_and_b32 vcc_lo, s13, vcc_lo
	s_delay_alu instid0(SALU_CYCLE_1)
	s_and_saveexec_b32 s13, vcc_lo
	s_cbranch_execz .LBB2_272
; %bb.271:                              ;   in Loop: Header=BB2_222 Depth=2
	v_mov_b32_e32 v2, 1
	s_waitcnt_vscnt null, 0x0
	buffer_gl1_inv
	buffer_gl0_inv
.LBB2_272:                              ;   in Loop: Header=BB2_222 Depth=2
	s_or_b32 exec_lo, exec_lo, s13
.LBB2_273:                              ;   in Loop: Header=BB2_222 Depth=2
	s_and_not1_saveexec_b32 s13, s17
	s_cbranch_execz .LBB2_295
; %bb.274:                              ;   in Loop: Header=BB2_222 Depth=2
	s_and_saveexec_b32 s17, s4
	s_delay_alu instid0(SALU_CYCLE_1)
	s_xor_b32 s17, exec_lo, s17
	s_cbranch_execz .LBB2_292
; %bb.275:                              ;   in Loop: Header=BB2_222 Depth=2
	s_and_saveexec_b32 s36, s1
	s_cbranch_execz .LBB2_291
; %bb.276:                              ;   in Loop: Header=BB2_222 Depth=2
	s_mov_b32 s38, exec_lo
	s_mov_b32 s37, exec_lo
	v_mbcnt_lo_u32_b32 v2, s38, 0
	;;#ASMSTART
	s_waitcnt lgkmcnt(0) vmcnt(0)
	;;#ASMEND
	s_delay_alu instid0(VALU_DEP_1)
	v_cmpx_eq_u32_e32 0, v2
	s_cbranch_execz .LBB2_278
; %bb.277:                              ;   in Loop: Header=BB2_222 Depth=2
	s_bcnt1_i32_b32 vcc_lo, s38
	s_delay_alu instid0(SALU_CYCLE_1)
	v_mov_b32_e32 v2, vcc_lo
	ds_add_u64 v0, v[2:3]
	s_cbranch_execnz .LBB2_1530
.LBB2_278:                              ;   in Loop: Header=BB2_222 Depth=2
	s_or_b32 exec_lo, exec_lo, s37
	s_cbranch_execnz .LBB2_1510
; %bb.279:                              ;   in Loop: Header=BB2_222 Depth=2
	ds_load_b64 v[9:10], v0
	v_add_co_u32 v12, vcc_lo, v12, v71
	v_add_co_ci_u32_e32 v13, vcc_lo, 0, v13, vcc_lo
	s_mov_b32 s37, exec_lo
	s_waitcnt lgkmcnt(0)
	s_delay_alu instid0(VALU_DEP_1)
	v_cmpx_lt_u64_e64 v[9:10], v[12:13]
	s_cbranch_execz .LBB2_290
; %bb.280:                              ;   in Loop: Header=BB2_222 Depth=2
	s_mov_b32 s38, 0
	s_mov_b32 s41, 0
                                        ; implicit-def: $sgpr39
                                        ; implicit-def: $sgpr40
	s_branch .LBB2_282
.LBB2_281:                              ;   in Loop: Header=BB2_282 Depth=3
	s_or_b32 exec_lo, exec_lo, s43
	s_delay_alu instid0(SALU_CYCLE_1) | instskip(NEXT) | instid1(SALU_CYCLE_1)
	s_and_b32 vcc_lo, exec_lo, vcc_lo
	s_or_b32 s38, vcc_lo, s38
	s_and_not1_b32 vcc_lo, s39, exec_lo
	s_and_b32 s39, s40, exec_lo
	s_delay_alu instid0(SALU_CYCLE_1)
	s_or_b32 s39, vcc_lo, s39
	s_and_not1_b32 exec_lo, exec_lo, s38
	s_cbranch_execz .LBB2_288
.LBB2_282:                              ;   Parent Loop BB2_51 Depth=1
                                        ;     Parent Loop BB2_222 Depth=2
                                        ; =>    This Inner Loop Header: Depth=3
	s_add_i32 s41, s41, 1
                                        ; implicit-def: $sgpr43
	s_delay_alu instid0(SALU_CYCLE_1) | instskip(SKIP_1) | instid1(SALU_CYCLE_1)
	s_cmpk_lg_i32 s41, 0x2710
	s_cselect_b32 s42, -1, 0
	s_and_b32 vcc_lo, exec_lo, s42
	s_cbranch_vccz .LBB2_286
.LBB2_283:                              ;   in Loop: Header=BB2_282 Depth=3
	s_and_not1_b32 s40, s40, exec_lo
	s_and_b32 s43, s43, exec_lo
	s_mov_b32 vcc_lo, -1
	s_or_b32 s40, s40, s43
	s_and_saveexec_b32 s43, s42
	s_cbranch_execz .LBB2_281
; %bb.284:                              ;   in Loop: Header=BB2_282 Depth=3
	s_sleep 1
	s_cbranch_execnz .LBB2_1554
; %bb.285:                              ;   in Loop: Header=BB2_282 Depth=3
	ds_load_b64 v[9:10], v0
	s_and_not1_b32 s40, s40, exec_lo
	s_waitcnt lgkmcnt(0)
	v_cmp_ge_u64_e32 vcc_lo, v[9:10], v[12:13]
	s_or_not1_b32 vcc_lo, vcc_lo, exec_lo
	s_branch .LBB2_281
.LBB2_286:                              ;   in Loop: Header=BB2_282 Depth=3
	s_cbranch_execnz .LBB2_1566
; %bb.287:                              ;   in Loop: Header=BB2_282 Depth=3
	ds_load_b64 v[9:10], v0
	s_and_not1_b32 s42, s42, exec_lo
	s_mov_b32 s41, 0
	s_mov_b32 s43, -1
	s_waitcnt lgkmcnt(0)
	s_waitcnt_vscnt null, 0x0
	flat_load_b32 v2, v[9:10] glc
	s_waitcnt vmcnt(0) lgkmcnt(0)
	buffer_gl1_inv
	buffer_gl0_inv
	v_cmp_eq_u32_e32 vcc_lo, 0, v2
	s_and_b32 vcc_lo, vcc_lo, exec_lo
	s_delay_alu instid0(SALU_CYCLE_1)
	s_or_b32 s42, s42, vcc_lo
	s_branch .LBB2_283
.LBB2_288:                              ;   in Loop: Header=BB2_222 Depth=2
	s_or_b32 exec_lo, exec_lo, s38
	s_and_saveexec_b32 vcc_lo, s39
	s_delay_alu instid0(SALU_CYCLE_1)
	s_xor_b32 vcc_lo, exec_lo, vcc_lo
	s_cbranch_execz .LBB2_290
; %bb.289:                              ;   in Loop: Header=BB2_222 Depth=2
	ds_store_b32 v0, v115
	s_cbranch_execnz .LBB2_1780
.LBB2_290:                              ;   in Loop: Header=BB2_222 Depth=2
	s_or_b32 exec_lo, exec_lo, s37
	;;#ASMSTART
	s_wakeup
	;;#ASMEND
.LBB2_291:                              ;   in Loop: Header=BB2_222 Depth=2
	s_or_b32 exec_lo, exec_lo, s36
.LBB2_292:                              ;   in Loop: Header=BB2_222 Depth=2
	s_and_not1_saveexec_b32 s17, s17
	s_cbranch_execz .LBB2_294
; %bb.293:                              ;   in Loop: Header=BB2_222 Depth=2
	;;#ASMSTART
	s_waitcnt lgkmcnt(0) vmcnt(0)
	;;#ASMEND
	s_waitcnt lgkmcnt(0)
	s_waitcnt_vscnt null, 0x0
	s_barrier
.LBB2_294:                              ;   in Loop: Header=BB2_222 Depth=2
	s_or_b32 exec_lo, exec_lo, s17
	v_and_b32_e32 v2, 16, v30
.LBB2_295:                              ;   in Loop: Header=BB2_222 Depth=2
	s_or_b32 exec_lo, exec_lo, s13
	s_delay_alu instid0(SALU_CYCLE_1) | instskip(NEXT) | instid1(VALU_DEP_1)
	s_mov_b32 s13, exec_lo
	v_cmpx_ne_u32_e32 0, v2
	s_cbranch_execz .LBB2_299
; %bb.296:                              ;   in Loop: Header=BB2_222 Depth=2
	s_and_saveexec_b32 s17, s11
	s_cbranch_execz .LBB2_298
; %bb.297:                              ;   in Loop: Header=BB2_222 Depth=2
	s_waitcnt lgkmcnt(0)
	s_waitcnt_vscnt null, 0x0
	flat_store_b32 v[26:27], v115
.LBB2_298:                              ;   in Loop: Header=BB2_222 Depth=2
	s_or_b32 exec_lo, exec_lo, s17
	v_add_co_u32 v22, vcc_lo, v22, 2
	v_add_co_ci_u32_e32 v23, vcc_lo, 0, v23, vcc_lo
	s_waitcnt lgkmcnt(0)
	s_waitcnt_vscnt null, 0x0
	flat_store_b64 v[20:21], v[22:23]
.LBB2_299:                              ;   in Loop: Header=BB2_222 Depth=2
	s_or_b32 exec_lo, exec_lo, s13
	v_add_nc_u32_e32 v55, v8, v55
	s_mov_b32 s13, 0
	s_and_not1_b32 exec_lo, exec_lo, s16
	s_cbranch_execnz .LBB2_222
; %bb.300:                              ;   in Loop: Header=BB2_51 Depth=1
	s_or_b32 exec_lo, exec_lo, s16
.LBB2_301:                              ;   in Loop: Header=BB2_51 Depth=1
	s_delay_alu instid0(SALU_CYCLE_1) | instskip(NEXT) | instid1(SALU_CYCLE_1)
	s_or_b32 exec_lo, exec_lo, s15
	s_and_not1_b32 vcc_lo, exec_lo, s14
                                        ; implicit-def: $vgpr78 : SGPR spill to VGPR lane
	s_cbranch_vccnz .LBB2_557
; %bb.302:                              ;   in Loop: Header=BB2_51 Depth=1
	s_mov_b32 s15, 2
	v_writelane_b32 v78, s12, 0
.LBB2_303:                              ;   Parent Loop BB2_51 Depth=1
                                        ; =>  This Loop Header: Depth=2
                                        ;       Child Loop BB2_305 Depth 3
                                        ;         Child Loop BB2_314 Depth 4
                                        ;         Child Loop BB2_346 Depth 4
	;; [unrolled: 1-line block ×9, first 2 shown]
                                        ;       Child Loop BB2_473 Depth 3
                                        ;         Child Loop BB2_479 Depth 4
                                        ;         Child Loop BB2_509 Depth 4
	;; [unrolled: 1-line block ×3, first 2 shown]
	s_sub_i32 s12, s35, s15
	s_mov_b32 s17, 0
	s_cmp_le_i32 s23, s12
	v_mov_b32_e32 v65, 0
	s_cselect_b32 s13, s23, 0
	s_delay_alu instid0(SALU_CYCLE_1) | instskip(NEXT) | instid1(SALU_CYCLE_1)
	s_sub_i32 s12, s12, s13
	s_ashr_i32 s13, s12, 31
	v_mul_lo_u32 v2, v39, s12
	v_mad_u64_u32 v[10:11], null, v38, s12, 0
	v_mul_lo_u32 v8, v38, s13
	s_delay_alu instid0(VALU_DEP_1) | instskip(NEXT) | instid1(VALU_DEP_3)
	v_add3_u32 v11, v11, v8, v2
	v_sub_co_u32 v8, vcc_lo, v48, v10
	s_delay_alu instid0(VALU_DEP_2) | instskip(NEXT) | instid1(VALU_DEP_1)
	v_sub_co_ci_u32_e32 v9, vcc_lo, v49, v11, vcc_lo
	v_cmp_lt_i64_e32 vcc_lo, v[38:39], v[8:9]
	v_cndmask_b32_e32 v8, v8, v38, vcc_lo
	s_delay_alu instid0(VALU_DEP_1) | instskip(SKIP_1) | instid1(VALU_DEP_2)
	v_max_i32_e32 v64, 0, v8
	v_cmp_lt_i32_e32 vcc_lo, 0, v8
	v_add_nc_u32_e32 v2, 31, v64
	s_and_b32 s12, s19, vcc_lo
	s_delay_alu instid0(VALU_DEP_1) | instskip(NEXT) | instid1(VALU_DEP_1)
	v_lshrrev_b32_e32 v2, 1, v2
	v_dual_mov_b32 v2, 0 :: v_dual_and_b32 v9, 0x3ffffff0, v2
	s_delay_alu instid0(VALU_DEP_1)
	v_max_i32_e32 v8, s25, v9
	s_and_saveexec_b32 s16, s12
	s_cbranch_execz .LBB2_471
; %bb.304:                              ;   in Loop: Header=BB2_303 Depth=2
	v_mov_b32_e32 v65, 0
	s_mov_b32 s37, s20
	s_mov_b32 s38, s19
	;; [unrolled: 1-line block ×3, first 2 shown]
	s_mov_b32 s19, -1
.LBB2_305:                              ;   Parent Loop BB2_51 Depth=1
                                        ;     Parent Loop BB2_303 Depth=2
                                        ; =>    This Loop Header: Depth=3
                                        ;         Child Loop BB2_314 Depth 4
                                        ;         Child Loop BB2_346 Depth 4
	;; [unrolled: 1-line block ×9, first 2 shown]
	s_and_saveexec_b32 s12, s0
	s_cbranch_execz .LBB2_308
; %bb.306:                              ;   in Loop: Header=BB2_305 Depth=3
	s_cbranch_execnz .LBB2_1477
; %bb.307:                              ;   in Loop: Header=BB2_305 Depth=3
	ds_load_b64 v[50:51], v0
	s_waitcnt lgkmcnt(0)
	v_add_co_u32 v2, vcc_lo, v50, v116
	v_add_co_ci_u32_e32 v9, vcc_lo, v51, v117, vcc_lo
	v_ashrrev_i32_e32 v51, 31, v65
	s_delay_alu instid0(VALU_DEP_3) | instskip(NEXT) | instid1(VALU_DEP_3)
	v_add_co_u32 v2, vcc_lo, v2, v10
	v_add_co_ci_u32_e32 v9, vcc_lo, v9, v11, vcc_lo
	s_delay_alu instid0(VALU_DEP_2) | instskip(NEXT) | instid1(VALU_DEP_2)
	v_add_co_u32 v50, vcc_lo, v2, v65
	v_add_co_ci_u32_e32 v51, vcc_lo, v9, v51, vcc_lo
	v_mov_b32_e32 v2, v3
	ds_store_b64 v0, v[50:51]
	ds_store_b64 v0, v[2:3]
.LBB2_308:                              ;   in Loop: Header=BB2_305 Depth=3
	s_or_b32 exec_lo, exec_lo, s12
	v_and_b32_e32 v2, 12, v30
	s_mov_b32 s39, -1
	s_mov_b32 s12, exec_lo
	s_delay_alu instid0(VALU_DEP_1)
	v_cmpx_ne_u32_e32 0, v2
	s_cbranch_execz .LBB2_322
; %bb.309:                              ;   in Loop: Header=BB2_305 Depth=3
	v_dual_mov_b32 v9, 1 :: v_dual_and_b32 v2, 8, v30
	s_mov_b32 s20, s37
	s_mov_b32 s36, s38
	s_mov_b32 s37, exec_lo
	s_delay_alu instid0(VALU_DEP_1) | instskip(SKIP_3) | instid1(VALU_DEP_1)
	v_add_co_u32 v52, vcc_lo, v28, v2
	v_add_co_ci_u32_e32 v53, vcc_lo, 0, v29, vcc_lo
	v_add_co_u32 v50, vcc_lo, v22, 2
	v_add_co_ci_u32_e32 v51, vcc_lo, 0, v23, vcc_lo
	v_cmpx_lt_u64_e64 v[52:53], v[50:51]
	s_cbranch_execz .LBB2_321
; %bb.310:                              ;   in Loop: Header=BB2_305 Depth=3
	v_mov_b32_e32 v9, 0
	s_mov_b32 s38, 0
                                        ; implicit-def: $sgpr39
	s_branch .LBB2_314
.LBB2_311:                              ;   in Loop: Header=BB2_314 Depth=4
	s_or_b32 exec_lo, exec_lo, s43
	v_mov_b32_e32 v52, 0
	s_or_not1_b32 s42, s42, exec_lo
.LBB2_312:                              ;   in Loop: Header=BB2_314 Depth=4
	s_or_b32 exec_lo, exec_lo, s41
	s_delay_alu instid0(VALU_DEP_1) | instskip(SKIP_2) | instid1(SALU_CYCLE_1)
	v_mov_b32_e32 v9, v52
	s_and_not1_b32 vcc_lo, s39, exec_lo
	s_and_b32 s39, s42, exec_lo
	s_or_b32 s39, vcc_lo, s39
.LBB2_313:                              ;   in Loop: Header=BB2_314 Depth=4
	s_or_b32 exec_lo, exec_lo, s40
	s_waitcnt vmcnt(0) lgkmcnt(0)
	v_add_co_u32 v52, vcc_lo, v28, v2
	v_add_co_ci_u32_e32 v53, vcc_lo, 0, v29, vcc_lo
	s_xor_b32 s40, s39, -1
	s_delay_alu instid0(VALU_DEP_1) | instskip(SKIP_1) | instid1(SALU_CYCLE_1)
	v_cmp_ge_u64_e32 vcc_lo, v[52:53], v[50:51]
	s_or_b32 vcc_lo, s40, vcc_lo
	s_and_b32 vcc_lo, exec_lo, vcc_lo
	s_delay_alu instid0(SALU_CYCLE_1) | instskip(NEXT) | instid1(SALU_CYCLE_1)
	s_or_b32 s38, vcc_lo, s38
	s_and_not1_b32 exec_lo, exec_lo, s38
	s_cbranch_execz .LBB2_320
.LBB2_314:                              ;   Parent Loop BB2_51 Depth=1
                                        ;     Parent Loop BB2_303 Depth=2
                                        ;       Parent Loop BB2_305 Depth=3
                                        ; =>      This Inner Loop Header: Depth=4
	s_sleep 1
	flat_load_b64 v[28:29], v[20:21] glc
	v_and_b32_e32 v52, 64, v30
	s_and_not1_b32 s39, s39, exec_lo
	s_mov_b32 s40, exec_lo
	s_delay_alu instid0(VALU_DEP_1)
	v_cmpx_eq_u32_e32 0, v52
	s_cbranch_execz .LBB2_313
; %bb.315:                              ;   in Loop: Header=BB2_314 Depth=4
	v_add_nc_u32_e32 v52, 1, v9
	s_mov_b32 s42, -1
	s_mov_b32 s41, exec_lo
	v_cmpx_lt_i32_e32 0x270e, v9
	s_cbranch_execz .LBB2_312
; %bb.316:                              ;   in Loop: Header=BB2_314 Depth=4
	s_cbranch_execnz .LBB2_1508
; %bb.317:                              ;   in Loop: Header=BB2_314 Depth=4
	ds_load_b64 v[52:53], v0
	s_mov_b32 s43, exec_lo
	s_waitcnt vmcnt(0) lgkmcnt(0)
	s_waitcnt_vscnt null, 0x0
	flat_load_b32 v9, v[52:53] glc
	s_waitcnt vmcnt(0) lgkmcnt(0)
	buffer_gl1_inv
	buffer_gl0_inv
	v_cmpx_ne_u32_e32 0, v9
	s_cbranch_execz .LBB2_311
; %bb.318:                              ;   in Loop: Header=BB2_314 Depth=4
	ds_store_b32 v0, v9
	s_cbranch_execnz .LBB2_1558
; %bb.319:                              ;   in Loop: Header=BB2_314 Depth=4
	v_or_b32_e32 v30, 64, v30
	s_xor_b32 s42, exec_lo, -1
	s_branch .LBB2_311
.LBB2_320:                              ;   in Loop: Header=BB2_305 Depth=3
	s_or_b32 exec_lo, exec_lo, s38
	v_and_b32_e32 v9, 12, v30
.LBB2_321:                              ;   in Loop: Header=BB2_305 Depth=3
	s_or_b32 exec_lo, exec_lo, s37
	s_delay_alu instid0(VALU_DEP_1)
	v_cmp_eq_u32_e32 vcc_lo, 0, v9
	s_mov_b32 s38, s36
	s_mov_b32 s37, s20
	;;#ASMSTART
	s_wakeup
	;;#ASMEND
	s_or_not1_b32 s39, vcc_lo, exec_lo
.LBB2_322:                              ;   in Loop: Header=BB2_305 Depth=3
	s_or_b32 exec_lo, exec_lo, s12
	v_sub_nc_u32_e32 v2, v64, v65
	s_xor_b32 s20, s39, -1
	s_delay_alu instid0(VALU_DEP_1)
	v_min_i32_e32 v8, v8, v2
	s_and_saveexec_b32 s12, s20
	s_cbranch_execz .LBB2_337
; %bb.323:                              ;   in Loop: Header=BB2_305 Depth=3
	v_and_b32_e32 v2, 0x108, v30
	s_mov_b32 s36, s13
	s_mov_b32 s20, s19
	;; [unrolled: 1-line block ×4, first 2 shown]
	s_mov_b32 s13, exec_lo
	v_cmpx_ne_u32_e32 0x108, v2
	s_xor_b32 s13, exec_lo, s13
                                        ; implicit-def: $vgpr50_vgpr51
; %bb.324:                              ;   in Loop: Header=BB2_305 Depth=3
	v_and_b32_e32 v50, 7, v22
; %bb.325:                              ;   in Loop: Header=BB2_305 Depth=3
	s_and_not1_saveexec_b32 s13, s13
	s_cbranch_execz .LBB2_327
; %bb.326:                              ;   in Loop: Header=BB2_305 Depth=3
	v_and_b32_e32 v50, 7, v22
	v_ashrrev_i32_e32 v9, 31, v8
	s_delay_alu instid0(VALU_DEP_2)
	v_mad_u64_u32 v[51:52], null, v50, 24, v[6:7]
	flat_store_b64 v[51:52], v[8:9] offset:8
.LBB2_327:                              ;   in Loop: Header=BB2_305 Depth=3
	s_or_b32 exec_lo, exec_lo, s13
	v_and_b32_e32 v2, 0x100, v30
	s_mov_b32 s13, -1
	s_mov_b32 s38, exec_lo
                                        ; implicit-def: $vgpr51_vgpr52
	s_delay_alu instid0(VALU_DEP_1)
	v_cmpx_ne_u32_e32 0, v2
	s_cbranch_execnz .LBB2_330
; %bb.328:                              ;   in Loop: Header=BB2_305 Depth=3
	s_or_b32 exec_lo, exec_lo, s38
	s_and_saveexec_b32 vcc_lo, s13
	s_cbranch_execnz .LBB2_333
.LBB2_329:                              ;   in Loop: Header=BB2_305 Depth=3
	s_or_b32 exec_lo, exec_lo, vcc_lo
	s_cbranch_execnz .LBB2_1504
	s_branch .LBB2_334
.LBB2_330:                              ;   in Loop: Header=BB2_305 Depth=3
	v_mad_u64_u32 v[53:54], null, v50, 24, v[6:7]
	s_mov_b32 s39, exec_lo
	s_delay_alu instid0(VALU_DEP_1) | instskip(NEXT) | instid1(VALU_DEP_1)
	v_mov_b32_e32 v2, v54
	v_mad_u64_u32 v[51:52], null, v3, 24, v[2:3]
	s_delay_alu instid0(VALU_DEP_1)
	v_mov_b32_e32 v54, v51
                                        ; implicit-def: $vgpr51_vgpr52
	flat_load_b32 v2, v[53:54]
	s_waitcnt vmcnt(0) lgkmcnt(0)
	v_cmp_ne_u32_e32 vcc_lo, 1, v2
	v_cmpx_eq_u32_e32 1, v2
	s_cbranch_execz .LBB2_332
; %bb.331:                              ;   in Loop: Header=BB2_305 Depth=3
	flat_load_b32 v51, v[53:54] offset:4 glc
	s_waitcnt vmcnt(0) lgkmcnt(0)
	v_ashrrev_i32_e32 v52, 31, v51
.LBB2_332:                              ;   in Loop: Header=BB2_305 Depth=3
	s_or_b32 exec_lo, exec_lo, s39
	s_delay_alu instid0(SALU_CYCLE_1)
	s_or_not1_b32 s13, vcc_lo, exec_lo
	s_or_b32 exec_lo, exec_lo, s38
	s_and_saveexec_b32 vcc_lo, s13
	s_cbranch_execz .LBB2_329
.LBB2_333:                              ;   in Loop: Header=BB2_305 Depth=3
	v_mul_lo_u32 v2, v3, v68
	v_mul_lo_u32 v9, v50, v70
	v_mad_u64_u32 v[51:52], null, v50, v68, 0
	s_delay_alu instid0(VALU_DEP_1)
	v_add3_u32 v52, v52, v9, v2
	s_or_b32 exec_lo, exec_lo, vcc_lo
	s_cbranch_execnz .LBB2_1504
.LBB2_334:                              ;   in Loop: Header=BB2_305 Depth=3
	s_delay_alu instid0(VALU_DEP_2)
	v_add_co_u32 v50, vcc_lo, v24, v51
	v_and_b32_e32 v2, 0x2000, v30
	v_add_co_ci_u32_e32 v51, vcc_lo, v25, v52, vcc_lo
	s_mov_b32 s13, exec_lo
	ds_store_b64 v0, v[50:51]
	v_cmpx_ne_u32_e32 0, v2
	s_cbranch_execz .LBB2_336
; %bb.335:                              ;   in Loop: Header=BB2_305 Depth=3
	ds_load_b64 v[50:51], v0 offset:584
	s_waitcnt lgkmcnt(0)
	v_add_co_u32 v50, vcc_lo, v50, 1
	v_add_co_ci_u32_e32 v51, vcc_lo, 0, v51, vcc_lo
	ds_store_b64 v0, v[50:51] offset:584
.LBB2_336:                              ;   in Loop: Header=BB2_305 Depth=3
	s_or_b32 exec_lo, exec_lo, s13
	v_add_co_u32 v22, vcc_lo, v22, 2
	v_add_co_ci_u32_e32 v23, vcc_lo, 0, v23, vcc_lo
	s_mov_b32 s38, s37
	s_mov_b32 s37, s19
	;; [unrolled: 1-line block ×4, first 2 shown]
.LBB2_337:                              ;   in Loop: Header=BB2_305 Depth=3
	s_or_b32 exec_lo, exec_lo, s12
	v_writelane_b32 v78, s13, 23
	v_writelane_b32 v78, s19, 24
	s_and_saveexec_b32 s13, s3
	s_cbranch_execz .LBB2_359
; %bb.338:                              ;   in Loop: Header=BB2_305 Depth=3
	s_mov_b32 s36, s38
	s_mov_b32 s20, s27
	s_mov_b32 s19, s22
	s_mov_b32 s12, s14
	s_mov_b32 s14, s21
	s_and_saveexec_b32 s21, s4
	s_delay_alu instid0(SALU_CYCLE_1)
	s_xor_b32 s21, exec_lo, s21
	s_cbranch_execz .LBB2_356
; %bb.339:                              ;   in Loop: Header=BB2_305 Depth=3
	s_and_saveexec_b32 s22, s1
	s_cbranch_execz .LBB2_355
; %bb.340:                              ;   in Loop: Header=BB2_305 Depth=3
	s_mov_b32 s38, exec_lo
	s_mov_b32 s27, exec_lo
	v_mbcnt_lo_u32_b32 v2, s38, 0
	s_waitcnt lgkmcnt(0)
	s_waitcnt_vscnt null, 0x0
	buffer_gl1_inv
	buffer_gl0_inv
	v_cmpx_eq_u32_e32 0, v2
	s_cbranch_execz .LBB2_342
; %bb.341:                              ;   in Loop: Header=BB2_305 Depth=3
	s_bcnt1_i32_b32 vcc_lo, s38
	s_delay_alu instid0(SALU_CYCLE_1)
	v_mov_b32_e32 v2, vcc_lo
	ds_add_u64 v0, v[2:3]
	s_cbranch_execnz .LBB2_1614
.LBB2_342:                              ;   in Loop: Header=BB2_305 Depth=3
	s_or_b32 exec_lo, exec_lo, s27
	s_cbranch_execnz .LBB2_1580
; %bb.343:                              ;   in Loop: Header=BB2_305 Depth=3
	ds_load_b64 v[50:51], v0
	v_add_co_u32 v12, vcc_lo, v12, v71
	v_add_co_ci_u32_e32 v13, vcc_lo, 0, v13, vcc_lo
	s_mov_b32 s27, exec_lo
	s_waitcnt lgkmcnt(0)
	s_delay_alu instid0(VALU_DEP_1)
	v_cmpx_lt_u64_e64 v[50:51], v[12:13]
	s_cbranch_execz .LBB2_354
; %bb.344:                              ;   in Loop: Header=BB2_305 Depth=3
	s_mov_b32 s38, 0
	s_mov_b32 s41, 0
                                        ; implicit-def: $sgpr39
                                        ; implicit-def: $sgpr40
	s_branch .LBB2_346
.LBB2_345:                              ;   in Loop: Header=BB2_346 Depth=4
	s_or_b32 exec_lo, exec_lo, s43
	s_delay_alu instid0(SALU_CYCLE_1) | instskip(NEXT) | instid1(SALU_CYCLE_1)
	s_and_b32 vcc_lo, exec_lo, vcc_lo
	s_or_b32 s38, vcc_lo, s38
	s_and_not1_b32 vcc_lo, s39, exec_lo
	s_and_b32 s39, s40, exec_lo
	s_delay_alu instid0(SALU_CYCLE_1)
	s_or_b32 s39, vcc_lo, s39
	s_and_not1_b32 exec_lo, exec_lo, s38
	s_cbranch_execz .LBB2_352
.LBB2_346:                              ;   Parent Loop BB2_51 Depth=1
                                        ;     Parent Loop BB2_303 Depth=2
                                        ;       Parent Loop BB2_305 Depth=3
                                        ; =>      This Inner Loop Header: Depth=4
	s_add_i32 s41, s41, 1
                                        ; implicit-def: $sgpr43
	s_delay_alu instid0(SALU_CYCLE_1) | instskip(SKIP_1) | instid1(SALU_CYCLE_1)
	s_cmpk_lg_i32 s41, 0x2710
	s_cselect_b32 s42, -1, 0
	s_and_b32 vcc_lo, exec_lo, s42
	s_cbranch_vccz .LBB2_350
.LBB2_347:                              ;   in Loop: Header=BB2_346 Depth=4
	s_and_not1_b32 s40, s40, exec_lo
	s_and_b32 s43, s43, exec_lo
	s_mov_b32 vcc_lo, -1
	s_or_b32 s40, s40, s43
	s_and_saveexec_b32 s43, s42
	s_cbranch_execz .LBB2_345
; %bb.348:                              ;   in Loop: Header=BB2_346 Depth=4
	s_sleep 1
	s_cbranch_execnz .LBB2_1660
; %bb.349:                              ;   in Loop: Header=BB2_346 Depth=4
	ds_load_b64 v[50:51], v0
	s_and_not1_b32 s40, s40, exec_lo
	s_waitcnt lgkmcnt(0)
	v_cmp_ge_u64_e32 vcc_lo, v[50:51], v[12:13]
	s_or_not1_b32 vcc_lo, vcc_lo, exec_lo
	s_branch .LBB2_345
.LBB2_350:                              ;   in Loop: Header=BB2_346 Depth=4
	s_cbranch_execnz .LBB2_1672
; %bb.351:                              ;   in Loop: Header=BB2_346 Depth=4
	ds_load_b64 v[50:51], v0
	s_and_not1_b32 s42, s42, exec_lo
	s_mov_b32 s41, 0
	s_mov_b32 s43, -1
	s_waitcnt lgkmcnt(0)
	flat_load_b32 v2, v[50:51] glc
	s_waitcnt vmcnt(0) lgkmcnt(0)
	buffer_gl1_inv
	buffer_gl0_inv
	v_cmp_eq_u32_e32 vcc_lo, 0, v2
	s_and_b32 vcc_lo, vcc_lo, exec_lo
	s_delay_alu instid0(SALU_CYCLE_1)
	s_or_b32 s42, s42, vcc_lo
	s_branch .LBB2_347
.LBB2_352:                              ;   in Loop: Header=BB2_305 Depth=3
	s_or_b32 exec_lo, exec_lo, s38
	s_and_saveexec_b32 vcc_lo, s39
	s_delay_alu instid0(SALU_CYCLE_1)
	s_xor_b32 vcc_lo, exec_lo, vcc_lo
	s_cbranch_execz .LBB2_354
; %bb.353:                              ;   in Loop: Header=BB2_305 Depth=3
	ds_store_b32 v0, v115
	s_cbranch_execnz .LBB2_1868
.LBB2_354:                              ;   in Loop: Header=BB2_305 Depth=3
	s_or_b32 exec_lo, exec_lo, s27
	;;#ASMSTART
	s_wakeup
	;;#ASMEND
.LBB2_355:                              ;   in Loop: Header=BB2_305 Depth=3
	s_or_b32 exec_lo, exec_lo, s22
.LBB2_356:                              ;   in Loop: Header=BB2_305 Depth=3
	s_and_not1_saveexec_b32 s21, s21
	s_cbranch_execz .LBB2_358
; %bb.357:                              ;   in Loop: Header=BB2_305 Depth=3
	s_waitcnt lgkmcnt(0)
	s_waitcnt_vscnt null, 0x0
	buffer_gl1_inv
	buffer_gl0_inv
	s_barrier
.LBB2_358:                              ;   in Loop: Header=BB2_305 Depth=3
	s_or_b32 exec_lo, exec_lo, s21
	s_mov_b32 s21, s14
	s_mov_b32 s14, s12
	;; [unrolled: 1-line block ×5, first 2 shown]
.LBB2_359:                              ;   in Loop: Header=BB2_305 Depth=3
	s_or_b32 exec_lo, exec_lo, s13
	s_cbranch_execnz .LBB2_1483
; %bb.360:                              ;   in Loop: Header=BB2_305 Depth=3
	ds_load_b32 v50, v0
	v_and_b32_e32 v2, 0x4000, v30
	s_xor_b32 s13, s2, -1
	s_mov_b32 s12, s37
	s_mov_b32 s20, s38
	;; [unrolled: 1-line block ×3, first 2 shown]
	v_cmp_ne_u32_e32 vcc_lo, 0, v2
	s_mov_b32 s27, s26
	s_mov_b32 s26, s22
	;; [unrolled: 1-line block ×3, first 2 shown]
	s_and_b32 s14, s13, vcc_lo
	s_delay_alu instid0(SALU_CYCLE_1)
	s_and_saveexec_b32 s13, s14
	s_cbranch_execz .LBB2_382
; %bb.361:                              ;   in Loop: Header=BB2_305 Depth=3
	s_and_saveexec_b32 s14, s4
	s_delay_alu instid0(SALU_CYCLE_1)
	s_xor_b32 s14, exec_lo, s14
	s_cbranch_execz .LBB2_379
; %bb.362:                              ;   in Loop: Header=BB2_305 Depth=3
	s_and_saveexec_b32 s36, s1
	s_cbranch_execz .LBB2_378
; %bb.363:                              ;   in Loop: Header=BB2_305 Depth=3
	s_mov_b32 s38, exec_lo
	s_mov_b32 s37, exec_lo
	v_mbcnt_lo_u32_b32 v2, s38, 0
	s_waitcnt lgkmcnt(0)
	s_waitcnt_vscnt null, 0x0
	buffer_gl1_inv
	buffer_gl0_inv
	v_cmpx_eq_u32_e32 0, v2
	s_cbranch_execz .LBB2_365
; %bb.364:                              ;   in Loop: Header=BB2_305 Depth=3
	s_bcnt1_i32_b32 vcc_lo, s38
	s_delay_alu instid0(SALU_CYCLE_1)
	v_mov_b32_e32 v2, vcc_lo
	ds_add_u64 v0, v[2:3]
	s_cbranch_execnz .LBB2_1646
.LBB2_365:                              ;   in Loop: Header=BB2_305 Depth=3
	s_or_b32 exec_lo, exec_lo, s37
	s_cbranch_execnz .LBB2_1636
; %bb.366:                              ;   in Loop: Header=BB2_305 Depth=3
	ds_load_b64 v[51:52], v0
	v_add_co_u32 v12, vcc_lo, v12, v71
	v_add_co_ci_u32_e32 v13, vcc_lo, 0, v13, vcc_lo
	s_mov_b32 s37, exec_lo
	s_waitcnt lgkmcnt(0)
	s_delay_alu instid0(VALU_DEP_1)
	v_cmpx_lt_u64_e64 v[51:52], v[12:13]
	s_cbranch_execz .LBB2_377
; %bb.367:                              ;   in Loop: Header=BB2_305 Depth=3
	s_mov_b32 s38, 0
	s_mov_b32 s41, 0
                                        ; implicit-def: $sgpr39
                                        ; implicit-def: $sgpr40
	s_branch .LBB2_369
.LBB2_368:                              ;   in Loop: Header=BB2_369 Depth=4
	s_or_b32 exec_lo, exec_lo, s43
	s_delay_alu instid0(SALU_CYCLE_1) | instskip(NEXT) | instid1(SALU_CYCLE_1)
	s_and_b32 vcc_lo, exec_lo, vcc_lo
	s_or_b32 s38, vcc_lo, s38
	s_and_not1_b32 vcc_lo, s39, exec_lo
	s_and_b32 s39, s40, exec_lo
	s_delay_alu instid0(SALU_CYCLE_1)
	s_or_b32 s39, vcc_lo, s39
	s_and_not1_b32 exec_lo, exec_lo, s38
	s_cbranch_execz .LBB2_375
.LBB2_369:                              ;   Parent Loop BB2_51 Depth=1
                                        ;     Parent Loop BB2_303 Depth=2
                                        ;       Parent Loop BB2_305 Depth=3
                                        ; =>      This Inner Loop Header: Depth=4
	s_add_i32 s41, s41, 1
                                        ; implicit-def: $sgpr43
	s_delay_alu instid0(SALU_CYCLE_1) | instskip(SKIP_1) | instid1(SALU_CYCLE_1)
	s_cmpk_lg_i32 s41, 0x2710
	s_cselect_b32 s42, -1, 0
	s_and_b32 vcc_lo, exec_lo, s42
	s_cbranch_vccz .LBB2_373
.LBB2_370:                              ;   in Loop: Header=BB2_369 Depth=4
	s_and_not1_b32 s40, s40, exec_lo
	s_and_b32 s43, s43, exec_lo
	s_mov_b32 vcc_lo, -1
	s_or_b32 s40, s40, s43
	s_and_saveexec_b32 s43, s42
	s_cbranch_execz .LBB2_368
; %bb.371:                              ;   in Loop: Header=BB2_369 Depth=4
	s_sleep 1
	s_cbranch_execnz .LBB2_1712
; %bb.372:                              ;   in Loop: Header=BB2_369 Depth=4
	ds_load_b64 v[51:52], v0
	s_and_not1_b32 s40, s40, exec_lo
	s_waitcnt lgkmcnt(0)
	v_cmp_ge_u64_e32 vcc_lo, v[51:52], v[12:13]
	s_or_not1_b32 vcc_lo, vcc_lo, exec_lo
	s_branch .LBB2_368
.LBB2_373:                              ;   in Loop: Header=BB2_369 Depth=4
	s_cbranch_execnz .LBB2_1726
; %bb.374:                              ;   in Loop: Header=BB2_369 Depth=4
	ds_load_b64 v[51:52], v0
	s_and_not1_b32 s42, s42, exec_lo
	s_mov_b32 s41, 0
	s_mov_b32 s43, -1
	s_waitcnt lgkmcnt(0)
	flat_load_b32 v2, v[51:52] glc
	s_waitcnt vmcnt(0) lgkmcnt(0)
	buffer_gl1_inv
	buffer_gl0_inv
	v_cmp_eq_u32_e32 vcc_lo, 0, v2
	s_and_b32 vcc_lo, vcc_lo, exec_lo
	s_delay_alu instid0(SALU_CYCLE_1)
	s_or_b32 s42, s42, vcc_lo
	s_branch .LBB2_370
.LBB2_375:                              ;   in Loop: Header=BB2_305 Depth=3
	s_or_b32 exec_lo, exec_lo, s38
	s_and_saveexec_b32 vcc_lo, s39
	s_delay_alu instid0(SALU_CYCLE_1)
	s_xor_b32 vcc_lo, exec_lo, vcc_lo
	s_cbranch_execz .LBB2_377
; %bb.376:                              ;   in Loop: Header=BB2_305 Depth=3
	ds_store_b32 v0, v115
	s_cbranch_execnz .LBB2_1904
.LBB2_377:                              ;   in Loop: Header=BB2_305 Depth=3
	s_or_b32 exec_lo, exec_lo, s37
	;;#ASMSTART
	s_wakeup
	;;#ASMEND
.LBB2_378:                              ;   in Loop: Header=BB2_305 Depth=3
	s_or_b32 exec_lo, exec_lo, s36
.LBB2_379:                              ;   in Loop: Header=BB2_305 Depth=3
	s_and_not1_saveexec_b32 s14, s14
	s_cbranch_execz .LBB2_381
; %bb.380:                              ;   in Loop: Header=BB2_305 Depth=3
	s_waitcnt lgkmcnt(0)
	s_waitcnt_vscnt null, 0x0
	buffer_gl1_inv
	buffer_gl0_inv
	s_barrier
.LBB2_381:                              ;   in Loop: Header=BB2_305 Depth=3
	s_or_b32 exec_lo, exec_lo, s14
.LBB2_382:                              ;   in Loop: Header=BB2_305 Depth=3
	s_delay_alu instid0(SALU_CYCLE_1)
	s_or_b32 exec_lo, exec_lo, s13
	s_cbranch_execnz .LBB2_1526
; %bb.383:                              ;   in Loop: Header=BB2_305 Depth=3
	ds_load_b64 v[51:52], v0
	v_mov_b32_e32 v9, 0
	s_waitcnt lgkmcnt(0)
	v_cmp_eq_u64_e32 vcc_lo, 0, v[51:52]
	s_or_b32 s13, vcc_lo, vcc_lo
	s_delay_alu instid0(SALU_CYCLE_1)
	s_and_b32 vcc_lo, exec_lo, s13
	s_cbranch_vccnz .LBB2_417
; %bb.384:                              ;   in Loop: Header=BB2_305 Depth=3
	s_mov_b32 s13, -1
	s_mov_b32 s14, exec_lo
	v_readlane_b32 vcc_lo, v78, 0
	s_delay_alu instid0(VALU_DEP_1) | instskip(NEXT) | instid1(SALU_CYCLE_1)
	s_and_b32 vcc_lo, s14, vcc_lo
	s_mov_b32 exec_lo, vcc_lo
	s_cbranch_execz .LBB2_386
; %bb.385:                              ;   in Loop: Header=BB2_305 Depth=3
	ds_load_b32 v2, v0 offset:720
	s_waitcnt lgkmcnt(0)
	v_and_b32_e32 v2, 15, v2
	s_delay_alu instid0(VALU_DEP_1)
	v_cmp_eq_u32_e32 vcc_lo, 0, v2
	s_or_not1_b32 s13, vcc_lo, exec_lo
.LBB2_386:                              ;   in Loop: Header=BB2_305 Depth=3
	s_or_b32 exec_lo, exec_lo, s14
	s_and_saveexec_b32 s14, s6
	s_cbranch_execz .LBB2_388
; %bb.387:                              ;   in Loop: Header=BB2_305 Depth=3
	ds_load_b32 v2, v0 offset:784
	s_waitcnt lgkmcnt(0)
	v_and_b32_e32 v2, 15, v2
	s_delay_alu instid0(VALU_DEP_1) | instskip(SKIP_3) | instid1(SALU_CYCLE_1)
	v_cmp_eq_u32_e32 vcc_lo, 0, v2
	s_and_b32 vcc_lo, s13, vcc_lo
	s_and_not1_b32 s13, s13, exec_lo
	s_and_b32 vcc_lo, vcc_lo, exec_lo
	s_or_b32 s13, s13, vcc_lo
.LBB2_388:                              ;   in Loop: Header=BB2_305 Depth=3
	s_or_b32 exec_lo, exec_lo, s14
	v_cmp_eq_u32_e32 vcc_lo, 0, v50
	s_xor_b32 s13, s13, -1
	v_mov_b32_e32 v50, v80
	v_cndmask_b32_e64 v2, 0, 1, s13
	;;#ASMSTART
	;;#ASMEND
	v_cndmask_b32_e32 v9, 0, v8, vcc_lo
	s_delay_alu instid0(VALU_DEP_2) | instskip(SKIP_2) | instid1(VALU_DEP_3)
	v_cmp_ne_u32_e32 vcc_lo, 0, v2
	v_mov_b32_e32 v2, 0
	s_mov_b32 s37, -1
	v_dual_mov_b32 v67, v0 :: v_dual_mov_b32 v66, v9
	s_cbranch_vccnz .LBB2_404
; %bb.389:                              ;   in Loop: Header=BB2_305 Depth=3
	v_ashrrev_i32_e32 v2, 31, v9
	s_mov_b32 s36, exec_lo
	s_delay_alu instid0(VALU_DEP_1) | instskip(NEXT) | instid1(VALU_DEP_1)
	v_lshrrev_b32_e32 v2, 23, v2
	v_add_nc_u32_e32 v2, v9, v2
	s_delay_alu instid0(VALU_DEP_1) | instskip(SKIP_2) | instid1(VALU_DEP_3)
	v_and_b32_e32 v118, 0xfffffe00, v2
	v_ashrrev_i32_e32 v50, 9, v2
	v_sub_nc_u32_e32 v2, v9, v112
	v_sub_nc_u32_e32 v128, v9, v118
	s_delay_alu instid0(VALU_DEP_1) | instskip(NEXT) | instid1(VALU_DEP_4)
	v_cmp_lt_i32_e32 vcc_lo, 15, v128
	v_add_co_ci_u32_e64 v129, s13, v50, v113, vcc_lo
	s_delay_alu instid0(VALU_DEP_4)
	v_cmpx_lt_i32_e32 15, v2
	s_cbranch_execz .LBB2_394
; %bb.390:                              ;   in Loop: Header=BB2_305 Depth=3
	s_cbranch_execnz .LBB2_1676
; %bb.391:                              ;   in Loop: Header=BB2_305 Depth=3
	ds_load_b128 v[50:53], v0
	ds_load_b64 v[54:55], v0
	s_mov_b32 s37, 0
	s_waitcnt lgkmcnt(1)
	v_add_co_u32 v50, s13, v50, v112
	s_delay_alu instid0(VALU_DEP_1) | instskip(SKIP_1) | instid1(VALU_DEP_1)
	v_add_co_ci_u32_e64 v51, s13, v51, v114, s13
	v_add_co_u32 v52, s13, v52, v112
	v_add_co_ci_u32_e64 v53, s13, v53, v114, s13
	s_waitcnt lgkmcnt(0)
	v_add_co_u32 v54, s13, v54, v112
	s_delay_alu instid0(VALU_DEP_1)
	v_add_co_ci_u32_e64 v55, s13, v55, v114, s13
.LBB2_392:                              ;   Parent Loop BB2_51 Depth=1
                                        ;     Parent Loop BB2_303 Depth=2
                                        ;       Parent Loop BB2_305 Depth=3
                                        ; =>      This Inner Loop Header: Depth=4
	global_load_b128 v[130:133], v[50:51], off slc dlc
	global_load_b128 v[144:147], v[52:53], off slc dlc
	v_add_co_u32 v50, s13, v50, v96
	v_sub_nc_u32_e32 v2, v2, v82
	v_add_co_ci_u32_e64 v51, s13, v51, v97, s13
	v_add_co_u32 v52, s13, v52, v96
	s_delay_alu instid0(VALU_DEP_1) | instskip(NEXT) | instid1(VALU_DEP_4)
	v_add_co_ci_u32_e64 v53, s13, v53, v97, s13
	v_cmp_gt_i32_e64 s13, 16, v2
	v_sub_nc_u32_e32 v129, v129, v71
	s_delay_alu instid0(VALU_DEP_2)
	s_or_b32 s37, s13, s37
	s_waitcnt vmcnt(1)
	v_and_b32_e32 v66, 0xff00ff, v130
	s_waitcnt vmcnt(0)
	v_and_b32_e32 v67, 0xff00ff, v144
	v_and_b32_e32 v119, 0xff00ff00, v130
	;; [unrolled: 1-line block ×15, first 2 shown]
	v_add_nc_u32_e32 v66, v67, v66
	v_add_nc_u32_e32 v67, v130, v119
	;; [unrolled: 1-line block ×8, first 2 shown]
	v_perm_b32 v130, v67, v66, 0x7020500
	v_perm_b32 v131, v131, v119, 0x7020500
	;; [unrolled: 1-line block ×3, first 2 shown]
	s_delay_alu instid0(VALU_DEP_4) | instskip(SKIP_2) | instid1(VALU_DEP_1)
	v_perm_b32 v133, v133, v135, 0x7020500
	global_store_b128 v[54:55], v[130:133], off glc slc dlc
	v_add_co_u32 v54, s14, v54, v96
	v_add_co_ci_u32_e64 v55, s14, v55, v97, s14
	s_and_not1_b32 exec_lo, exec_lo, s37
	s_cbranch_execnz .LBB2_392
; %bb.393:                              ;   in Loop: Header=BB2_305 Depth=3
	s_or_b32 exec_lo, exec_lo, s37
.LBB2_394:                              ;   in Loop: Header=BB2_305 Depth=3
	s_delay_alu instid0(SALU_CYCLE_1) | instskip(SKIP_3) | instid1(VALU_DEP_1)
	s_or_b32 exec_lo, exec_lo, s36
	v_dual_mov_b32 v2, 0 :: v_dual_and_b32 v51, 15, v9
	s_mov_b32 s37, 0
	s_mov_b32 s36, exec_lo
                                        ; implicit-def: $vgpr66
                                        ; implicit-def: $vgpr67
                                        ; implicit-def: $vgpr50
	v_cndmask_b32_e32 v119, v128, v51, vcc_lo
	s_delay_alu instid0(VALU_DEP_1)
	v_cmpx_ne_u32_e32 0, v119
	s_cbranch_execz .LBB2_403
; %bb.395:                              ;   in Loop: Header=BB2_305 Depth=3
	v_cmp_lt_i32_e64 s13, 0, v129
	v_ashrrev_i32_e32 v52, 31, v119
	v_sub_nc_u32_e32 v51, v128, v51
	s_mov_b32 s37, exec_lo
	s_delay_alu instid0(VALU_DEP_3) | instskip(NEXT) | instid1(VALU_DEP_3)
	v_cndmask_b32_e64 v2, 0, v71, s13
	v_lshrrev_b32_e32 v52, 23, v52
	s_delay_alu instid0(VALU_DEP_3) | instskip(NEXT) | instid1(VALU_DEP_3)
	v_cndmask_b32_e32 v51, 0, v51, vcc_lo
	v_sub_nc_u32_e32 v2, v2, v129
	s_delay_alu instid0(VALU_DEP_3) | instskip(NEXT) | instid1(VALU_DEP_3)
	v_add_nc_u32_e32 v52, v119, v52
	v_add_nc_u32_e32 v118, v51, v118
	s_delay_alu instid0(VALU_DEP_3) | instskip(NEXT) | instid1(VALU_DEP_3)
	v_lshl_add_u32 v2, v2, 5, v81
	v_and_b32_e32 v129, 0xfffffe00, v52
	v_ashrrev_i32_e32 v52, 9, v52
	s_delay_alu instid0(VALU_DEP_3) | instskip(NEXT) | instid1(VALU_DEP_3)
	v_ashrrev_i32_e32 v50, 31, v2
	v_sub_nc_u32_e32 v128, v119, v129
	s_delay_alu instid0(VALU_DEP_2) | instskip(NEXT) | instid1(VALU_DEP_2)
	v_lshrrev_b32_e32 v50, 27, v50
	v_cmp_lt_i32_e32 vcc_lo, 15, v128
	s_delay_alu instid0(VALU_DEP_2) | instskip(SKIP_1) | instid1(VALU_DEP_2)
	v_add_nc_u32_e32 v50, v2, v50
	v_add_co_ci_u32_e64 v52, s13, 0, v52, vcc_lo
	v_and_b32_e32 v53, 0xffffffe0, v50
	s_delay_alu instid0(VALU_DEP_1) | instskip(SKIP_1) | instid1(VALU_DEP_2)
	v_sub_nc_u32_e32 v130, v2, v53
	v_ashrrev_i32_e32 v53, 5, v50
	v_lshlrev_b32_e32 v2, 4, v130
	s_delay_alu instid0(VALU_DEP_2) | instskip(NEXT) | instid1(VALU_DEP_2)
	v_sub_nc_u32_e32 v131, v52, v53
	v_lshl_add_u32 v50, v53, 9, v2
	s_delay_alu instid0(VALU_DEP_1) | instskip(NEXT) | instid1(VALU_DEP_1)
	v_sub_nc_u32_e32 v2, v119, v50
	v_cmpx_lt_i32_e32 15, v2
	s_cbranch_execz .LBB2_400
; %bb.396:                              ;   in Loop: Header=BB2_305 Depth=3
	s_cbranch_execnz .LBB2_1742
; %bb.397:                              ;   in Loop: Header=BB2_305 Depth=3
	ds_load_b128 v[51:54], v0
	ds_load_b64 v[66:67], v0
	v_add_nc_u32_e32 v55, v50, v118
	s_mov_b32 s38, 0
	s_delay_alu instid0(VALU_DEP_1) | instskip(SKIP_2) | instid1(VALU_DEP_1)
	v_ashrrev_i32_e32 v132, 31, v55
	s_waitcnt lgkmcnt(1)
	v_add_co_u32 v50, s13, v51, v55
	v_add_co_ci_u32_e64 v51, s13, v52, v132, s13
	v_add_co_u32 v52, s13, v53, v55
	s_delay_alu instid0(VALU_DEP_1) | instskip(SKIP_2) | instid1(VALU_DEP_1)
	v_add_co_ci_u32_e64 v53, s13, v54, v132, s13
	s_waitcnt lgkmcnt(0)
	v_add_co_u32 v54, s13, v66, v55
	v_add_co_ci_u32_e64 v55, s13, v67, v132, s13
.LBB2_398:                              ;   Parent Loop BB2_51 Depth=1
                                        ;     Parent Loop BB2_303 Depth=2
                                        ;       Parent Loop BB2_305 Depth=3
                                        ; =>      This Inner Loop Header: Depth=4
	global_load_b128 v[132:135], v[50:51], off slc dlc
	global_load_b128 v[144:147], v[52:53], off slc dlc
	v_add_co_u32 v50, s13, v50, v96
	v_sub_nc_u32_e32 v2, v2, v82
	v_add_co_ci_u32_e64 v51, s13, v51, v97, s13
	v_add_co_u32 v52, s13, v52, v96
	s_delay_alu instid0(VALU_DEP_1) | instskip(NEXT) | instid1(VALU_DEP_4)
	v_add_co_ci_u32_e64 v53, s13, v53, v97, s13
	v_cmp_gt_i32_e64 s13, 16, v2
	v_sub_nc_u32_e32 v131, v131, v71
	s_delay_alu instid0(VALU_DEP_2)
	s_or_b32 s38, s13, s38
	s_waitcnt vmcnt(1)
	v_and_b32_e32 v66, 0xff00ff, v132
	s_waitcnt vmcnt(0)
	v_and_b32_e32 v67, 0xff00ff, v144
	v_and_b32_e32 v132, 0xff00ff00, v132
	;; [unrolled: 1-line block ×15, first 2 shown]
	v_add_nc_u32_e32 v66, v67, v66
	v_add_nc_u32_e32 v67, v144, v132
	;; [unrolled: 1-line block ×8, first 2 shown]
	v_perm_b32 v132, v67, v66, 0x7020500
	v_perm_b32 v133, v133, v144, 0x7020500
	;; [unrolled: 1-line block ×3, first 2 shown]
	s_delay_alu instid0(VALU_DEP_4) | instskip(SKIP_2) | instid1(VALU_DEP_1)
	v_perm_b32 v135, v135, v146, 0x7020500
	global_store_b128 v[54:55], v[132:135], off glc slc dlc
	v_add_co_u32 v54, s14, v54, v96
	v_add_co_ci_u32_e64 v55, s14, v55, v97, s14
	s_and_not1_b32 exec_lo, exec_lo, s38
	s_cbranch_execnz .LBB2_398
; %bb.399:                              ;   in Loop: Header=BB2_305 Depth=3
	s_or_b32 exec_lo, exec_lo, s38
.LBB2_400:                              ;   in Loop: Header=BB2_305 Depth=3
	s_delay_alu instid0(SALU_CYCLE_1) | instskip(SKIP_3) | instid1(VALU_DEP_1)
	s_or_b32 exec_lo, exec_lo, s37
	v_dual_mov_b32 v2, 0 :: v_dual_and_b32 v51, 15, v119
	s_mov_b32 s14, 0
	s_mov_b32 s37, exec_lo
                                        ; implicit-def: $vgpr67
                                        ; implicit-def: $vgpr50
	v_cndmask_b32_e32 v66, v128, v51, vcc_lo
	s_delay_alu instid0(VALU_DEP_1)
	v_cmpx_ne_u32_e32 0, v66
	s_cbranch_execz .LBB2_402
; %bb.401:                              ;   in Loop: Header=BB2_305 Depth=3
	v_cmp_lt_i32_e64 s13, 0, v131
	v_sub_nc_u32_e32 v50, v128, v51
	s_mov_b32 s14, exec_lo
	s_delay_alu instid0(VALU_DEP_2) | instskip(NEXT) | instid1(VALU_DEP_2)
	v_cndmask_b32_e64 v2, 0, v71, s13
	v_cndmask_b32_e32 v50, 0, v50, vcc_lo
	s_delay_alu instid0(VALU_DEP_2) | instskip(NEXT) | instid1(VALU_DEP_1)
	v_sub_nc_u32_e32 v2, v2, v131
	v_lshl_add_u32 v67, v2, 5, v130
	s_delay_alu instid0(VALU_DEP_1) | instskip(NEXT) | instid1(VALU_DEP_1)
	v_ashrrev_i32_e32 v2, 31, v67
	v_lshrrev_b32_e32 v2, 27, v2
	s_delay_alu instid0(VALU_DEP_1) | instskip(SKIP_1) | instid1(VALU_DEP_2)
	v_add_nc_u32_e32 v51, v67, v2
	v_add3_u32 v2, v129, v118, v50
	v_ashrrev_i32_e32 v50, 5, v51
.LBB2_402:                              ;   in Loop: Header=BB2_305 Depth=3
	s_or_b32 exec_lo, exec_lo, s37
	s_delay_alu instid0(SALU_CYCLE_1)
	s_and_b32 s37, s14, exec_lo
.LBB2_403:                              ;   in Loop: Header=BB2_305 Depth=3
	s_or_b32 exec_lo, exec_lo, s36
.LBB2_404:                              ;   in Loop: Header=BB2_305 Depth=3
	s_and_saveexec_b32 s14, s37
	s_cbranch_execz .LBB2_416
; %bb.405:                              ;   in Loop: Header=BB2_305 Depth=3
	s_delay_alu instid0(VALU_DEP_1) | instskip(SKIP_1) | instid1(VALU_DEP_1)
	v_ashrrev_i32_e32 v51, 31, v66
	s_mov_b32 s36, exec_lo
	v_lshrrev_b32_e32 v51, 24, v51
	s_delay_alu instid0(VALU_DEP_1) | instskip(NEXT) | instid1(VALU_DEP_1)
	v_add_nc_u32_e32 v51, v66, v51
	v_ashrrev_i32_e32 v119, 8, v51
	s_delay_alu instid0(VALU_DEP_1) | instskip(NEXT) | instid1(VALU_DEP_1)
	v_sub_nc_u32_e32 v118, v119, v50
	v_cmpx_lt_i32_e32 0, v118
	s_cbranch_execz .LBB2_410
; %bb.406:                              ;   in Loop: Header=BB2_305 Depth=3
	s_cbranch_execnz .LBB2_1666
; %bb.407:                              ;   in Loop: Header=BB2_305 Depth=3
	v_ashrrev_i32_e32 v51, 31, v67
	ds_load_b64 v[128:129], v0
	v_lshlrev_b32_e32 v50, 8, v50
	s_mov_b32 s37, 0
	v_lshrrev_b32_e32 v51, 27, v51
	s_delay_alu instid0(VALU_DEP_1) | instskip(NEXT) | instid1(VALU_DEP_1)
	v_add_nc_u32_e32 v51, v67, v51
	v_and_b32_e32 v55, 0xffffffe0, v51
	ds_load_b128 v[51:54], v0
	v_sub_nc_u32_e32 v55, v67, v55
	s_waitcnt lgkmcnt(1)
	v_add_co_u32 v128, vcc_lo, 0xe0, v128
	v_add_co_ci_u32_e32 v129, vcc_lo, 0, v129, vcc_lo
	s_delay_alu instid0(VALU_DEP_3) | instskip(NEXT) | instid1(VALU_DEP_1)
	v_add3_u32 v55, v2, v55, v50
	v_ashrrev_i32_e32 v130, 31, v55
	s_waitcnt lgkmcnt(0)
	v_add_co_u32 v50, vcc_lo, v51, v55
	s_delay_alu instid0(VALU_DEP_2)
	v_add_co_ci_u32_e32 v51, vcc_lo, v52, v130, vcc_lo
	v_add_co_u32 v52, vcc_lo, v53, v55
	v_add_co_ci_u32_e32 v53, vcc_lo, v54, v130, vcc_lo
	v_add_co_u32 v54, vcc_lo, v128, v55
	v_add_co_ci_u32_e32 v55, vcc_lo, v129, v130, vcc_lo
.LBB2_408:                              ;   Parent Loop BB2_51 Depth=1
                                        ;     Parent Loop BB2_303 Depth=2
                                        ;       Parent Loop BB2_305 Depth=3
                                        ; =>      This Inner Loop Header: Depth=4
	s_clause 0x7
	flat_load_u8 v150, v[50:51] slc dlc
	flat_load_u8 v151, v[50:51] offset:32 slc dlc
	flat_load_u8 v160, v[50:51] offset:64 slc dlc
	;; [unrolled: 1-line block ×7, first 2 shown]
	s_clause 0x7
	flat_load_u8 v166, v[52:53] slc dlc
	flat_load_u8 v167, v[52:53] offset:32 slc dlc
	flat_load_u8 v176, v[52:53] offset:64 slc dlc
	;; [unrolled: 1-line block ×7, first 2 shown]
	v_add_co_u32 v128, vcc_lo, 0xffffff20, v54
	v_add_co_ci_u32_e32 v129, vcc_lo, -1, v55, vcc_lo
	v_add_co_u32 v130, vcc_lo, 0xffffff40, v54
	v_add_co_ci_u32_e32 v131, vcc_lo, -1, v55, vcc_lo
	;; [unrolled: 2-line block ×7, first 2 shown]
	v_add_co_u32 v50, vcc_lo, v50, v99
	v_sub_nc_u32_e32 v118, v118, v71
	v_add_co_ci_u32_e32 v51, vcc_lo, v51, v100, vcc_lo
	v_add_co_u32 v52, vcc_lo, v52, v99
	v_add_co_ci_u32_e32 v53, vcc_lo, v53, v100, vcc_lo
	s_delay_alu instid0(VALU_DEP_4)
	v_cmp_gt_i32_e32 vcc_lo, 1, v118
	s_or_b32 s37, vcc_lo, s37
	s_waitcnt vmcnt(7) lgkmcnt(7)
	v_add_nc_u16 v150, v166, v150
	s_waitcnt vmcnt(6) lgkmcnt(6)
	v_add_nc_u16 v151, v167, v151
	;; [unrolled: 2-line block ×8, first 2 shown]
	flat_store_b8 v[128:129], v150 glc slc dlc
	flat_store_b8 v[130:131], v151 glc slc dlc
	;; [unrolled: 1-line block ×8, first 2 shown]
	v_add_co_u32 v54, s13, v54, v99
	s_delay_alu instid0(VALU_DEP_1)
	v_add_co_ci_u32_e64 v55, s13, v55, v100, s13
	s_and_not1_b32 exec_lo, exec_lo, s37
	s_cbranch_execnz .LBB2_408
; %bb.409:                              ;   in Loop: Header=BB2_305 Depth=3
	s_or_b32 exec_lo, exec_lo, s37
.LBB2_410:                              ;   in Loop: Header=BB2_305 Depth=3
	s_delay_alu instid0(SALU_CYCLE_1) | instskip(SKIP_2) | instid1(VALU_DEP_1)
	s_or_b32 exec_lo, exec_lo, s36
	v_lshlrev_b32_e32 v50, 8, v119
	s_mov_b32 s36, exec_lo
	v_cmpx_ne_u32_e64 v66, v50
	s_cbranch_execz .LBB2_415
; %bb.411:                              ;   in Loop: Header=BB2_305 Depth=3
	v_ashrrev_i32_e32 v51, 31, v67
	v_lshlrev_b32_e32 v52, 5, v118
	s_delay_alu instid0(VALU_DEP_2) | instskip(NEXT) | instid1(VALU_DEP_1)
	v_lshrrev_b32_e32 v51, 27, v51
	v_add_nc_u32_e32 v51, v67, v51
	s_delay_alu instid0(VALU_DEP_1) | instskip(NEXT) | instid1(VALU_DEP_1)
	v_and_b32_e32 v51, 0xffffffe0, v51
	v_sub_nc_u32_e32 v51, v67, v51
	s_delay_alu instid0(VALU_DEP_1) | instskip(NEXT) | instid1(VALU_DEP_1)
	v_sub_nc_u32_e32 v51, v51, v52
	v_add_nc_u32_e32 v50, v50, v51
	s_delay_alu instid0(VALU_DEP_1) | instskip(NEXT) | instid1(VALU_DEP_1)
	v_sub_nc_u32_e32 v66, v66, v50
	v_cmp_lt_i32_e32 vcc_lo, 0, v66
	s_and_b32 exec_lo, exec_lo, vcc_lo
	s_cbranch_execz .LBB2_415
; %bb.412:                              ;   in Loop: Header=BB2_305 Depth=3
	s_cbranch_execnz .LBB2_1734
; %bb.413:                              ;   in Loop: Header=BB2_305 Depth=3
	ds_load_b128 v[51:54], v0
	ds_load_b64 v[118:119], v0
	v_add_nc_u32_e32 v2, v50, v2
	s_mov_b32 s37, 0
	s_delay_alu instid0(VALU_DEP_1) | instskip(SKIP_2) | instid1(VALU_DEP_2)
	v_ashrrev_i32_e32 v55, 31, v2
	s_waitcnt lgkmcnt(1)
	v_add_co_u32 v50, vcc_lo, v51, v2
	v_add_co_ci_u32_e32 v51, vcc_lo, v52, v55, vcc_lo
	v_add_co_u32 v52, vcc_lo, v53, v2
	v_add_co_ci_u32_e32 v53, vcc_lo, v54, v55, vcc_lo
	s_waitcnt lgkmcnt(0)
	v_add_co_u32 v54, vcc_lo, v118, v2
	v_add_co_ci_u32_e32 v55, vcc_lo, v119, v55, vcc_lo
.LBB2_414:                              ;   Parent Loop BB2_51 Depth=1
                                        ;     Parent Loop BB2_303 Depth=2
                                        ;       Parent Loop BB2_305 Depth=3
                                        ; =>      This Inner Loop Header: Depth=4
	flat_load_u8 v2, v[50:51] slc dlc
	flat_load_u8 v67, v[52:53] slc dlc
	v_add_co_u32 v50, vcc_lo, v50, v102
	v_sub_nc_u32_e32 v66, v66, v87
	v_add_co_ci_u32_e32 v51, vcc_lo, v51, v103, vcc_lo
	v_add_co_u32 v52, vcc_lo, v52, v102
	v_add_co_ci_u32_e32 v53, vcc_lo, v53, v103, vcc_lo
	s_delay_alu instid0(VALU_DEP_4)
	v_cmp_gt_i32_e32 vcc_lo, 1, v66
	s_or_b32 s37, vcc_lo, s37
	s_waitcnt vmcnt(0) lgkmcnt(0)
	v_add_nc_u16 v2, v67, v2
	flat_store_b8 v[54:55], v2 glc slc dlc
	v_add_co_u32 v54, s13, v54, v102
	s_delay_alu instid0(VALU_DEP_1)
	v_add_co_ci_u32_e64 v55, s13, v55, v103, s13
	s_and_not1_b32 exec_lo, exec_lo, s37
	s_cbranch_execnz .LBB2_414
.LBB2_415:                              ;   in Loop: Header=BB2_305 Depth=3
	s_or_b32 exec_lo, exec_lo, s36
.LBB2_416:                              ;   in Loop: Header=BB2_305 Depth=3
	s_delay_alu instid0(SALU_CYCLE_1)
	s_or_b32 exec_lo, exec_lo, s14
.LBB2_417:                              ;   in Loop: Header=BB2_305 Depth=3
	s_and_saveexec_b32 s13, s3
	s_cbranch_execz .LBB2_439
; %bb.418:                              ;   in Loop: Header=BB2_305 Depth=3
	s_and_saveexec_b32 s14, s4
	s_delay_alu instid0(SALU_CYCLE_1)
	s_xor_b32 s14, exec_lo, s14
	s_cbranch_execz .LBB2_436
; %bb.419:                              ;   in Loop: Header=BB2_305 Depth=3
	s_and_saveexec_b32 s36, s1
	s_cbranch_execz .LBB2_435
; %bb.420:                              ;   in Loop: Header=BB2_305 Depth=3
	s_mov_b32 s38, exec_lo
	s_mov_b32 s37, exec_lo
	v_mbcnt_lo_u32_b32 v2, s38, 0
	s_waitcnt lgkmcnt(0)
	s_waitcnt_vscnt null, 0x0
	buffer_gl1_inv
	buffer_gl0_inv
	v_cmpx_eq_u32_e32 0, v2
	s_cbranch_execz .LBB2_422
; %bb.421:                              ;   in Loop: Header=BB2_305 Depth=3
	s_bcnt1_i32_b32 vcc_lo, s38
	s_delay_alu instid0(SALU_CYCLE_1)
	v_mov_b32_e32 v2, vcc_lo
	ds_add_u64 v0, v[2:3]
	s_cbranch_execnz .LBB2_1714
.LBB2_422:                              ;   in Loop: Header=BB2_305 Depth=3
	s_or_b32 exec_lo, exec_lo, s37
	s_cbranch_execnz .LBB2_1690
; %bb.423:                              ;   in Loop: Header=BB2_305 Depth=3
	ds_load_b64 v[50:51], v0
	v_add_co_u32 v12, vcc_lo, v12, v71
	v_add_co_ci_u32_e32 v13, vcc_lo, 0, v13, vcc_lo
	s_mov_b32 s37, exec_lo
	s_waitcnt lgkmcnt(0)
	s_delay_alu instid0(VALU_DEP_1)
	v_cmpx_lt_u64_e64 v[50:51], v[12:13]
	s_cbranch_execz .LBB2_434
; %bb.424:                              ;   in Loop: Header=BB2_305 Depth=3
	s_mov_b32 s38, 0
	s_mov_b32 s41, 0
                                        ; implicit-def: $sgpr39
                                        ; implicit-def: $sgpr40
	s_branch .LBB2_426
.LBB2_425:                              ;   in Loop: Header=BB2_426 Depth=4
	s_or_b32 exec_lo, exec_lo, s43
	s_delay_alu instid0(SALU_CYCLE_1) | instskip(NEXT) | instid1(SALU_CYCLE_1)
	s_and_b32 vcc_lo, exec_lo, vcc_lo
	s_or_b32 s38, vcc_lo, s38
	s_and_not1_b32 vcc_lo, s39, exec_lo
	s_and_b32 s39, s40, exec_lo
	s_delay_alu instid0(SALU_CYCLE_1)
	s_or_b32 s39, vcc_lo, s39
	s_and_not1_b32 exec_lo, exec_lo, s38
	s_cbranch_execz .LBB2_432
.LBB2_426:                              ;   Parent Loop BB2_51 Depth=1
                                        ;     Parent Loop BB2_303 Depth=2
                                        ;       Parent Loop BB2_305 Depth=3
                                        ; =>      This Inner Loop Header: Depth=4
	s_add_i32 s41, s41, 1
                                        ; implicit-def: $sgpr43
	s_delay_alu instid0(SALU_CYCLE_1) | instskip(SKIP_1) | instid1(SALU_CYCLE_1)
	s_cmpk_lg_i32 s41, 0x2710
	s_cselect_b32 s42, -1, 0
	s_and_b32 vcc_lo, exec_lo, s42
	s_cbranch_vccz .LBB2_430
.LBB2_427:                              ;   in Loop: Header=BB2_426 Depth=4
	s_and_not1_b32 s40, s40, exec_lo
	s_and_b32 s43, s43, exec_lo
	s_mov_b32 vcc_lo, -1
	s_or_b32 s40, s40, s43
	s_and_saveexec_b32 s43, s42
	s_cbranch_execz .LBB2_425
; %bb.428:                              ;   in Loop: Header=BB2_426 Depth=4
	s_sleep 1
	s_cbranch_execnz .LBB2_1768
; %bb.429:                              ;   in Loop: Header=BB2_426 Depth=4
	ds_load_b64 v[50:51], v0
	s_and_not1_b32 s40, s40, exec_lo
	s_waitcnt lgkmcnt(0)
	v_cmp_ge_u64_e32 vcc_lo, v[50:51], v[12:13]
	s_or_not1_b32 vcc_lo, vcc_lo, exec_lo
	s_branch .LBB2_425
.LBB2_430:                              ;   in Loop: Header=BB2_426 Depth=4
	s_cbranch_execnz .LBB2_1782
; %bb.431:                              ;   in Loop: Header=BB2_426 Depth=4
	ds_load_b64 v[50:51], v0
	s_and_not1_b32 s42, s42, exec_lo
	s_mov_b32 s41, 0
	s_mov_b32 s43, -1
	s_waitcnt lgkmcnt(0)
	flat_load_b32 v2, v[50:51] glc
	s_waitcnt vmcnt(0) lgkmcnt(0)
	buffer_gl1_inv
	buffer_gl0_inv
	v_cmp_eq_u32_e32 vcc_lo, 0, v2
	s_and_b32 vcc_lo, vcc_lo, exec_lo
	s_delay_alu instid0(SALU_CYCLE_1)
	s_or_b32 s42, s42, vcc_lo
	s_branch .LBB2_427
.LBB2_432:                              ;   in Loop: Header=BB2_305 Depth=3
	s_or_b32 exec_lo, exec_lo, s38
	s_and_saveexec_b32 vcc_lo, s39
	s_delay_alu instid0(SALU_CYCLE_1)
	s_xor_b32 vcc_lo, exec_lo, vcc_lo
	s_cbranch_execz .LBB2_434
; %bb.433:                              ;   in Loop: Header=BB2_305 Depth=3
	ds_store_b32 v0, v115
	s_cbranch_execnz .LBB2_1912
.LBB2_434:                              ;   in Loop: Header=BB2_305 Depth=3
	s_or_b32 exec_lo, exec_lo, s37
	;;#ASMSTART
	s_wakeup
	;;#ASMEND
.LBB2_435:                              ;   in Loop: Header=BB2_305 Depth=3
	s_or_b32 exec_lo, exec_lo, s36
.LBB2_436:                              ;   in Loop: Header=BB2_305 Depth=3
	s_and_not1_saveexec_b32 s14, s14
	s_cbranch_execz .LBB2_438
; %bb.437:                              ;   in Loop: Header=BB2_305 Depth=3
	s_waitcnt lgkmcnt(0)
	s_waitcnt_vscnt null, 0x0
	buffer_gl1_inv
	buffer_gl0_inv
	s_barrier
.LBB2_438:                              ;   in Loop: Header=BB2_305 Depth=3
	s_or_b32 exec_lo, exec_lo, s14
.LBB2_439:                              ;   in Loop: Header=BB2_305 Depth=3
	s_delay_alu instid0(SALU_CYCLE_1) | instskip(SKIP_1) | instid1(SALU_CYCLE_1)
	s_or_b32 exec_lo, exec_lo, s13
                                        ; implicit-def: $vgpr2
	s_and_saveexec_b32 s13, s7
	s_xor_b32 s14, exec_lo, s13
	s_cbranch_execz .LBB2_443
; %bb.440:                              ;   in Loop: Header=BB2_305 Depth=3
	v_and_b32_e32 v2, 16, v30
	v_cmp_lt_i32_e32 vcc_lo, 0, v9
	s_delay_alu instid0(VALU_DEP_2) | instskip(SKIP_1) | instid1(VALU_DEP_2)
	v_cmp_ne_u32_e64 s13, 0, v2
	v_and_b32_e32 v2, 16, v30
	s_and_b32 vcc_lo, s13, vcc_lo
	s_delay_alu instid0(SALU_CYCLE_1)
	s_and_saveexec_b32 s13, vcc_lo
	s_cbranch_execz .LBB2_442
; %bb.441:                              ;   in Loop: Header=BB2_305 Depth=3
	v_mov_b32_e32 v2, 1
	s_waitcnt lgkmcnt(0)
	s_waitcnt_vscnt null, 0x0
	buffer_gl1_inv
	buffer_gl0_inv
.LBB2_442:                              ;   in Loop: Header=BB2_305 Depth=3
	s_or_b32 exec_lo, exec_lo, s13
.LBB2_443:                              ;   in Loop: Header=BB2_305 Depth=3
	s_and_not1_saveexec_b32 s13, s14
	s_cbranch_execz .LBB2_465
; %bb.444:                              ;   in Loop: Header=BB2_305 Depth=3
	s_and_saveexec_b32 s14, s4
	s_delay_alu instid0(SALU_CYCLE_1)
	s_xor_b32 s14, exec_lo, s14
	s_cbranch_execz .LBB2_462
; %bb.445:                              ;   in Loop: Header=BB2_305 Depth=3
	s_and_saveexec_b32 s36, s1
	s_cbranch_execz .LBB2_461
; %bb.446:                              ;   in Loop: Header=BB2_305 Depth=3
	s_mov_b32 s38, exec_lo
	s_mov_b32 s37, exec_lo
	v_mbcnt_lo_u32_b32 v2, s38, 0
	;;#ASMSTART
	s_waitcnt lgkmcnt(0) vmcnt(0)
	;;#ASMEND
	s_delay_alu instid0(VALU_DEP_1)
	v_cmpx_eq_u32_e32 0, v2
	s_cbranch_execz .LBB2_448
; %bb.447:                              ;   in Loop: Header=BB2_305 Depth=3
	s_bcnt1_i32_b32 vcc_lo, s38
	s_delay_alu instid0(SALU_CYCLE_1)
	v_mov_b32_e32 v2, vcc_lo
	ds_add_u64 v0, v[2:3]
	s_cbranch_execnz .LBB2_1716
.LBB2_448:                              ;   in Loop: Header=BB2_305 Depth=3
	s_or_b32 exec_lo, exec_lo, s37
	s_cbranch_execnz .LBB2_1694
; %bb.449:                              ;   in Loop: Header=BB2_305 Depth=3
	ds_load_b64 v[50:51], v0
	v_add_co_u32 v12, vcc_lo, v12, v71
	v_add_co_ci_u32_e32 v13, vcc_lo, 0, v13, vcc_lo
	s_mov_b32 s37, exec_lo
	s_waitcnt lgkmcnt(0)
	s_delay_alu instid0(VALU_DEP_1)
	v_cmpx_lt_u64_e64 v[50:51], v[12:13]
	s_cbranch_execz .LBB2_460
; %bb.450:                              ;   in Loop: Header=BB2_305 Depth=3
	s_mov_b32 s38, 0
	s_mov_b32 s41, 0
                                        ; implicit-def: $sgpr39
                                        ; implicit-def: $sgpr40
	s_branch .LBB2_452
.LBB2_451:                              ;   in Loop: Header=BB2_452 Depth=4
	s_or_b32 exec_lo, exec_lo, s43
	s_delay_alu instid0(SALU_CYCLE_1) | instskip(NEXT) | instid1(SALU_CYCLE_1)
	s_and_b32 vcc_lo, exec_lo, vcc_lo
	s_or_b32 s38, vcc_lo, s38
	s_and_not1_b32 vcc_lo, s39, exec_lo
	s_and_b32 s39, s40, exec_lo
	s_delay_alu instid0(SALU_CYCLE_1)
	s_or_b32 s39, vcc_lo, s39
	s_and_not1_b32 exec_lo, exec_lo, s38
	s_cbranch_execz .LBB2_458
.LBB2_452:                              ;   Parent Loop BB2_51 Depth=1
                                        ;     Parent Loop BB2_303 Depth=2
                                        ;       Parent Loop BB2_305 Depth=3
                                        ; =>      This Inner Loop Header: Depth=4
	s_add_i32 s41, s41, 1
                                        ; implicit-def: $sgpr43
	s_delay_alu instid0(SALU_CYCLE_1) | instskip(SKIP_1) | instid1(SALU_CYCLE_1)
	s_cmpk_lg_i32 s41, 0x2710
	s_cselect_b32 s42, -1, 0
	s_and_b32 vcc_lo, exec_lo, s42
	s_cbranch_vccz .LBB2_456
.LBB2_453:                              ;   in Loop: Header=BB2_452 Depth=4
	s_and_not1_b32 s40, s40, exec_lo
	s_and_b32 s43, s43, exec_lo
	s_mov_b32 vcc_lo, -1
	s_or_b32 s40, s40, s43
	s_and_saveexec_b32 s43, s42
	s_cbranch_execz .LBB2_451
; %bb.454:                              ;   in Loop: Header=BB2_452 Depth=4
	s_sleep 1
	s_cbranch_execnz .LBB2_1770
; %bb.455:                              ;   in Loop: Header=BB2_452 Depth=4
	ds_load_b64 v[50:51], v0
	s_and_not1_b32 s40, s40, exec_lo
	s_waitcnt lgkmcnt(0)
	v_cmp_ge_u64_e32 vcc_lo, v[50:51], v[12:13]
	s_or_not1_b32 vcc_lo, vcc_lo, exec_lo
	s_branch .LBB2_451
.LBB2_456:                              ;   in Loop: Header=BB2_452 Depth=4
	s_cbranch_execnz .LBB2_1790
; %bb.457:                              ;   in Loop: Header=BB2_452 Depth=4
	ds_load_b64 v[50:51], v0
	s_and_not1_b32 s42, s42, exec_lo
	s_mov_b32 s41, 0
	s_mov_b32 s43, -1
	s_waitcnt lgkmcnt(0)
	s_waitcnt_vscnt null, 0x0
	flat_load_b32 v2, v[50:51] glc
	s_waitcnt vmcnt(0) lgkmcnt(0)
	buffer_gl1_inv
	buffer_gl0_inv
	v_cmp_eq_u32_e32 vcc_lo, 0, v2
	s_and_b32 vcc_lo, vcc_lo, exec_lo
	s_delay_alu instid0(SALU_CYCLE_1)
	s_or_b32 s42, s42, vcc_lo
	s_branch .LBB2_453
.LBB2_458:                              ;   in Loop: Header=BB2_305 Depth=3
	s_or_b32 exec_lo, exec_lo, s38
	s_and_saveexec_b32 vcc_lo, s39
	s_delay_alu instid0(SALU_CYCLE_1)
	s_xor_b32 vcc_lo, exec_lo, vcc_lo
	s_cbranch_execz .LBB2_460
; %bb.459:                              ;   in Loop: Header=BB2_305 Depth=3
	ds_store_b32 v0, v115
	s_cbranch_execnz .LBB2_1914
.LBB2_460:                              ;   in Loop: Header=BB2_305 Depth=3
	s_or_b32 exec_lo, exec_lo, s37
	;;#ASMSTART
	s_wakeup
	;;#ASMEND
.LBB2_461:                              ;   in Loop: Header=BB2_305 Depth=3
	s_or_b32 exec_lo, exec_lo, s36
.LBB2_462:                              ;   in Loop: Header=BB2_305 Depth=3
	s_and_not1_saveexec_b32 s14, s14
	s_cbranch_execz .LBB2_464
; %bb.463:                              ;   in Loop: Header=BB2_305 Depth=3
	;;#ASMSTART
	s_waitcnt lgkmcnt(0) vmcnt(0)
	;;#ASMEND
	s_waitcnt lgkmcnt(0)
	s_waitcnt_vscnt null, 0x0
	s_barrier
.LBB2_464:                              ;   in Loop: Header=BB2_305 Depth=3
	s_or_b32 exec_lo, exec_lo, s14
	v_and_b32_e32 v2, 16, v30
.LBB2_465:                              ;   in Loop: Header=BB2_305 Depth=3
	s_or_b32 exec_lo, exec_lo, s13
	s_delay_alu instid0(VALU_DEP_1) | instskip(SKIP_1) | instid1(SALU_CYCLE_1)
	v_cmp_ne_u32_e32 vcc_lo, 0, v2
	s_xor_b32 s13, s10, -1
	s_and_b32 s14, vcc_lo, s13
	s_delay_alu instid0(SALU_CYCLE_1)
	s_and_saveexec_b32 s13, s14
	s_cbranch_execz .LBB2_467
; %bb.466:                              ;   in Loop: Header=BB2_305 Depth=3
	s_waitcnt lgkmcnt(0)
	s_waitcnt_vscnt null, 0x0
	flat_store_b32 v[26:27], v115
.LBB2_467:                              ;   in Loop: Header=BB2_305 Depth=3
	s_or_b32 exec_lo, exec_lo, s13
	v_and_b32_e32 v2, 48, v30
	s_mov_b32 s13, exec_lo
	s_delay_alu instid0(VALU_DEP_1)
	v_cmpx_ne_u32_e32 0, v2
	s_cbranch_execz .LBB2_469
; %bb.468:                              ;   in Loop: Header=BB2_305 Depth=3
	v_add_co_u32 v22, vcc_lo, v22, 2
	v_add_co_ci_u32_e32 v23, vcc_lo, 0, v23, vcc_lo
	s_waitcnt lgkmcnt(0)
	s_waitcnt_vscnt null, 0x0
	flat_store_b64 v[20:21], v[22:23]
.LBB2_469:                              ;   in Loop: Header=BB2_305 Depth=3
	s_or_b32 exec_lo, exec_lo, s13
	v_add_nc_u32_e32 v65, v8, v65
	v_readlane_b32 s13, v78, 24
	s_mov_b32 s38, s20
	s_mov_b32 s37, s12
	s_delay_alu instid0(VALU_DEP_2) | instskip(NEXT) | instid1(VALU_DEP_2)
	v_cmp_ge_i32_e32 vcc_lo, v65, v64
	s_xor_b32 s13, s13, -1
	s_delay_alu instid0(SALU_CYCLE_1) | instskip(NEXT) | instid1(SALU_CYCLE_1)
	s_or_b32 s13, s13, vcc_lo
	s_and_b32 s14, exec_lo, s13
	v_readlane_b32 s13, v78, 23
	s_or_b32 s17, s14, s17
	s_mov_b32 s14, s22
	s_mov_b32 s22, s26
	;; [unrolled: 1-line block ×3, first 2 shown]
	v_mov_b32_e32 v2, s13
	s_mov_b32 s27, s19
	s_mov_b32 s13, 2
	;; [unrolled: 1-line block ×3, first 2 shown]
	s_and_not1_b32 exec_lo, exec_lo, s17
	s_cbranch_execnz .LBB2_305
; %bb.470:                              ;   in Loop: Header=BB2_303 Depth=2
	s_or_b32 exec_lo, exec_lo, s17
	s_mov_b32 s19, s38
	s_mov_b32 s20, s37
.LBB2_471:                              ;   in Loop: Header=BB2_303 Depth=2
	s_or_b32 exec_lo, exec_lo, s16
	s_delay_alu instid0(SALU_CYCLE_1)
	s_mov_b32 s12, exec_lo
	v_cmpx_gt_i32_e32 2, v2
	s_cbranch_execz .LBB2_555
; %bb.472:                              ;   in Loop: Header=BB2_303 Depth=2
	v_cmp_eq_u32_e64 s13, 0, v2
	s_mov_b32 s16, 0
.LBB2_473:                              ;   Parent Loop BB2_51 Depth=1
                                        ;     Parent Loop BB2_303 Depth=2
                                        ; =>    This Loop Header: Depth=3
                                        ;         Child Loop BB2_479 Depth 4
                                        ;         Child Loop BB2_509 Depth 4
	;; [unrolled: 1-line block ×3, first 2 shown]
	v_and_b32_e32 v2, 12, v30
	s_mov_b32 s36, -1
	s_mov_b32 s17, exec_lo
	s_delay_alu instid0(VALU_DEP_1)
	v_cmpx_ne_u32_e32 0, v2
	s_cbranch_execz .LBB2_487
; %bb.474:                              ;   in Loop: Header=BB2_473 Depth=3
	v_dual_mov_b32 v11, 1 :: v_dual_and_b32 v2, 8, v30
	s_mov_b32 s36, exec_lo
	s_delay_alu instid0(VALU_DEP_1) | instskip(SKIP_3) | instid1(VALU_DEP_1)
	v_add_co_u32 v50, vcc_lo, v28, v2
	v_add_co_ci_u32_e32 v51, vcc_lo, 0, v29, vcc_lo
	v_add_co_u32 v9, vcc_lo, v22, 2
	v_add_co_ci_u32_e32 v10, vcc_lo, 0, v23, vcc_lo
	v_cmpx_lt_u64_e64 v[50:51], v[9:10]
	s_cbranch_execz .LBB2_486
; %bb.475:                              ;   in Loop: Header=BB2_473 Depth=3
	v_mov_b32_e32 v11, 0
	s_mov_b32 s37, 0
                                        ; implicit-def: $sgpr38
	s_branch .LBB2_479
.LBB2_476:                              ;   in Loop: Header=BB2_479 Depth=4
	s_or_b32 exec_lo, exec_lo, s42
	v_mov_b32_e32 v50, 0
	s_or_not1_b32 s41, s41, exec_lo
.LBB2_477:                              ;   in Loop: Header=BB2_479 Depth=4
	s_or_b32 exec_lo, exec_lo, s40
	s_delay_alu instid0(VALU_DEP_1) | instskip(SKIP_2) | instid1(SALU_CYCLE_1)
	v_mov_b32_e32 v11, v50
	s_and_not1_b32 vcc_lo, s38, exec_lo
	s_and_b32 s38, s41, exec_lo
	s_or_b32 s38, vcc_lo, s38
.LBB2_478:                              ;   in Loop: Header=BB2_479 Depth=4
	s_or_b32 exec_lo, exec_lo, s39
	s_waitcnt vmcnt(0) lgkmcnt(0)
	v_add_co_u32 v50, vcc_lo, v28, v2
	v_add_co_ci_u32_e32 v51, vcc_lo, 0, v29, vcc_lo
	s_xor_b32 s39, s38, -1
	s_delay_alu instid0(VALU_DEP_1) | instskip(SKIP_1) | instid1(SALU_CYCLE_1)
	v_cmp_ge_u64_e32 vcc_lo, v[50:51], v[9:10]
	s_or_b32 vcc_lo, s39, vcc_lo
	s_and_b32 vcc_lo, exec_lo, vcc_lo
	s_delay_alu instid0(SALU_CYCLE_1) | instskip(NEXT) | instid1(SALU_CYCLE_1)
	s_or_b32 s37, vcc_lo, s37
	s_and_not1_b32 exec_lo, exec_lo, s37
	s_cbranch_execz .LBB2_485
.LBB2_479:                              ;   Parent Loop BB2_51 Depth=1
                                        ;     Parent Loop BB2_303 Depth=2
                                        ;       Parent Loop BB2_473 Depth=3
                                        ; =>      This Inner Loop Header: Depth=4
	s_sleep 1
	flat_load_b64 v[28:29], v[20:21] glc
	v_and_b32_e32 v50, 64, v30
	s_and_not1_b32 s38, s38, exec_lo
	s_mov_b32 s39, exec_lo
	s_delay_alu instid0(VALU_DEP_1)
	v_cmpx_eq_u32_e32 0, v50
	s_cbranch_execz .LBB2_478
; %bb.480:                              ;   in Loop: Header=BB2_479 Depth=4
	v_add_nc_u32_e32 v50, 1, v11
	s_mov_b32 s41, -1
	s_mov_b32 s40, exec_lo
	v_cmpx_lt_i32_e32 0x270e, v11
	s_cbranch_execz .LBB2_477
; %bb.481:                              ;   in Loop: Header=BB2_479 Depth=4
	s_cbranch_execnz .LBB2_1514
; %bb.482:                              ;   in Loop: Header=BB2_479 Depth=4
	ds_load_b64 v[50:51], v0
	s_mov_b32 s42, exec_lo
	s_waitcnt vmcnt(0) lgkmcnt(0)
	s_waitcnt_vscnt null, 0x0
	flat_load_b32 v11, v[50:51] glc
	s_waitcnt vmcnt(0) lgkmcnt(0)
	buffer_gl1_inv
	buffer_gl0_inv
	v_cmpx_ne_u32_e32 0, v11
	s_cbranch_execz .LBB2_476
; %bb.483:                              ;   in Loop: Header=BB2_479 Depth=4
	ds_store_b32 v0, v11
	s_cbranch_execnz .LBB2_1562
; %bb.484:                              ;   in Loop: Header=BB2_479 Depth=4
	v_or_b32_e32 v30, 64, v30
	s_xor_b32 s41, exec_lo, -1
	s_branch .LBB2_476
.LBB2_485:                              ;   in Loop: Header=BB2_473 Depth=3
	s_or_b32 exec_lo, exec_lo, s37
	v_and_b32_e32 v11, 12, v30
.LBB2_486:                              ;   in Loop: Header=BB2_473 Depth=3
	s_or_b32 exec_lo, exec_lo, s36
	s_delay_alu instid0(VALU_DEP_1)
	v_cmp_eq_u32_e32 vcc_lo, 0, v11
	;;#ASMSTART
	s_wakeup
	;;#ASMEND
	s_or_not1_b32 s36, vcc_lo, exec_lo
.LBB2_487:                              ;   in Loop: Header=BB2_473 Depth=3
	s_or_b32 exec_lo, exec_lo, s17
	v_sub_nc_u32_e32 v2, v64, v65
	s_xor_b32 s13, s13, -1
	s_delay_alu instid0(SALU_CYCLE_1) | instskip(NEXT) | instid1(SALU_CYCLE_1)
	s_and_b32 s13, exec_lo, s13
	s_or_b32 s16, s13, s16
	s_delay_alu instid0(VALU_DEP_1) | instskip(SKIP_1) | instid1(SALU_CYCLE_1)
	v_min_i32_e32 v8, v8, v2
	s_xor_b32 s13, s36, -1
	s_and_saveexec_b32 s17, s13
	s_cbranch_execz .LBB2_500
; %bb.488:                              ;   in Loop: Header=BB2_473 Depth=3
	v_and_b32_e32 v2, 0x108, v30
	s_delay_alu instid0(VALU_DEP_1) | instskip(SKIP_2) | instid1(SALU_CYCLE_1)
	v_cmp_ne_u32_e32 vcc_lo, 0x108, v2
	v_and_b32_e32 v2, 7, v22
	s_and_saveexec_b32 s13, vcc_lo
	s_xor_b32 s13, exec_lo, s13
	s_delay_alu instid0(SALU_CYCLE_1)
	s_and_not1_saveexec_b32 s13, s13
	s_cbranch_execz .LBB2_490
; %bb.489:                              ;   in Loop: Header=BB2_473 Depth=3
	v_mad_u64_u32 v[10:11], null, v2, 24, v[6:7]
	v_ashrrev_i32_e32 v9, 31, v8
	flat_store_b64 v[10:11], v[8:9] offset:8
.LBB2_490:                              ;   in Loop: Header=BB2_473 Depth=3
	s_or_b32 exec_lo, exec_lo, s13
	v_and_b32_e32 v9, 0x100, v30
	s_mov_b32 s13, -1
	s_delay_alu instid0(VALU_DEP_1)
	v_cmp_ne_u32_e32 vcc_lo, 0, v9
                                        ; implicit-def: $vgpr9_vgpr10
	s_and_saveexec_b32 s36, vcc_lo
	s_cbranch_execnz .LBB2_493
; %bb.491:                              ;   in Loop: Header=BB2_473 Depth=3
	s_or_b32 exec_lo, exec_lo, s36
	s_and_saveexec_b32 vcc_lo, s13
	s_cbranch_execnz .LBB2_496
.LBB2_492:                              ;   in Loop: Header=BB2_473 Depth=3
	s_or_b32 exec_lo, exec_lo, vcc_lo
	s_cbranch_execnz .LBB2_1506
	s_branch .LBB2_497
.LBB2_493:                              ;   in Loop: Header=BB2_473 Depth=3
	v_mad_u64_u32 v[50:51], null, v2, 24, v[6:7]
	s_delay_alu instid0(VALU_DEP_1) | instskip(NEXT) | instid1(VALU_DEP_1)
	v_mov_b32_e32 v9, v51
	v_mad_u64_u32 v[10:11], null, v3, 24, v[9:10]
	s_delay_alu instid0(VALU_DEP_1) | instskip(SKIP_4) | instid1(VALU_DEP_1)
	v_mov_b32_e32 v51, v10
	flat_load_b32 v9, v[50:51]
	s_waitcnt vmcnt(0) lgkmcnt(0)
	v_cmp_ne_u32_e32 vcc_lo, 1, v9
	v_cmp_eq_u32_e64 s13, 1, v9
                                        ; implicit-def: $vgpr9_vgpr10
	s_and_saveexec_b32 s37, s13
	s_cbranch_execz .LBB2_495
; %bb.494:                              ;   in Loop: Header=BB2_473 Depth=3
	flat_load_b32 v9, v[50:51] offset:4 glc
	s_waitcnt vmcnt(0) lgkmcnt(0)
	v_ashrrev_i32_e32 v10, 31, v9
.LBB2_495:                              ;   in Loop: Header=BB2_473 Depth=3
	s_or_b32 exec_lo, exec_lo, s37
	s_delay_alu instid0(SALU_CYCLE_1)
	s_or_not1_b32 s13, vcc_lo, exec_lo
	s_or_b32 exec_lo, exec_lo, s36
	s_and_saveexec_b32 vcc_lo, s13
	s_cbranch_execz .LBB2_492
.LBB2_496:                              ;   in Loop: Header=BB2_473 Depth=3
	v_mul_lo_u32 v11, v3, v68
	v_mul_lo_u32 v50, v2, v70
	v_mad_u64_u32 v[9:10], null, v2, v68, 0
	s_delay_alu instid0(VALU_DEP_1)
	v_add3_u32 v10, v10, v50, v11
	s_or_b32 exec_lo, exec_lo, vcc_lo
	s_cbranch_execnz .LBB2_1506
.LBB2_497:                              ;   in Loop: Header=BB2_473 Depth=3
	s_delay_alu instid0(VALU_DEP_2)
	v_add_co_u32 v9, vcc_lo, v24, v9
	v_and_b32_e32 v2, 0x2000, v30
	v_add_co_ci_u32_e32 v10, vcc_lo, v25, v10, vcc_lo
	s_mov_b32 s13, exec_lo
	ds_store_b64 v0, v[9:10]
	v_cmpx_ne_u32_e32 0, v2
	s_cbranch_execz .LBB2_499
; %bb.498:                              ;   in Loop: Header=BB2_473 Depth=3
	ds_load_b64 v[9:10], v0 offset:584
	s_waitcnt lgkmcnt(0)
	v_add_co_u32 v9, vcc_lo, v9, 1
	v_add_co_ci_u32_e32 v10, vcc_lo, 0, v10, vcc_lo
	ds_store_b64 v0, v[9:10] offset:584
.LBB2_499:                              ;   in Loop: Header=BB2_473 Depth=3
	s_or_b32 exec_lo, exec_lo, s13
	v_add_co_u32 v22, vcc_lo, v22, 2
	v_add_co_ci_u32_e32 v23, vcc_lo, 0, v23, vcc_lo
.LBB2_500:                              ;   in Loop: Header=BB2_473 Depth=3
	s_or_b32 exec_lo, exec_lo, s17
	s_and_saveexec_b32 s13, s3
	s_cbranch_execz .LBB2_522
; %bb.501:                              ;   in Loop: Header=BB2_473 Depth=3
	s_mov_b32 s36, s20
	s_mov_b32 s20, s19
	;; [unrolled: 1-line block ×4, first 2 shown]
	s_and_saveexec_b32 s22, s4
	s_delay_alu instid0(SALU_CYCLE_1)
	s_xor_b32 s22, exec_lo, s22
	s_cbranch_execz .LBB2_519
; %bb.502:                              ;   in Loop: Header=BB2_473 Depth=3
	s_and_saveexec_b32 s27, s1
	s_cbranch_execz .LBB2_518
; %bb.503:                              ;   in Loop: Header=BB2_473 Depth=3
	s_mov_b32 s38, exec_lo
	s_mov_b32 s37, exec_lo
	v_mbcnt_lo_u32_b32 v2, s38, 0
	s_waitcnt lgkmcnt(0)
	s_waitcnt_vscnt null, 0x0
	buffer_gl1_inv
	buffer_gl0_inv
	v_cmpx_eq_u32_e32 0, v2
	s_cbranch_execz .LBB2_505
; %bb.504:                              ;   in Loop: Header=BB2_473 Depth=3
	s_bcnt1_i32_b32 vcc_lo, s38
	s_delay_alu instid0(SALU_CYCLE_1)
	v_mov_b32_e32 v2, vcc_lo
	ds_add_u64 v0, v[2:3]
	s_cbranch_execnz .LBB2_1616
.LBB2_505:                              ;   in Loop: Header=BB2_473 Depth=3
	s_or_b32 exec_lo, exec_lo, s37
	s_cbranch_execnz .LBB2_1582
; %bb.506:                              ;   in Loop: Header=BB2_473 Depth=3
	ds_load_b64 v[9:10], v0
	v_add_co_u32 v12, vcc_lo, v12, v71
	v_add_co_ci_u32_e32 v13, vcc_lo, 0, v13, vcc_lo
	s_mov_b32 s37, exec_lo
	s_waitcnt lgkmcnt(0)
	s_delay_alu instid0(VALU_DEP_1)
	v_cmpx_lt_u64_e64 v[9:10], v[12:13]
	s_cbranch_execz .LBB2_517
; %bb.507:                              ;   in Loop: Header=BB2_473 Depth=3
	s_mov_b32 s38, 0
	s_mov_b32 s41, 0
                                        ; implicit-def: $sgpr39
                                        ; implicit-def: $sgpr40
	s_branch .LBB2_509
.LBB2_508:                              ;   in Loop: Header=BB2_509 Depth=4
	s_or_b32 exec_lo, exec_lo, s43
	s_delay_alu instid0(SALU_CYCLE_1) | instskip(NEXT) | instid1(SALU_CYCLE_1)
	s_and_b32 vcc_lo, exec_lo, vcc_lo
	s_or_b32 s38, vcc_lo, s38
	s_and_not1_b32 vcc_lo, s39, exec_lo
	s_and_b32 s39, s40, exec_lo
	s_delay_alu instid0(SALU_CYCLE_1)
	s_or_b32 s39, vcc_lo, s39
	s_and_not1_b32 exec_lo, exec_lo, s38
	s_cbranch_execz .LBB2_515
.LBB2_509:                              ;   Parent Loop BB2_51 Depth=1
                                        ;     Parent Loop BB2_303 Depth=2
                                        ;       Parent Loop BB2_473 Depth=3
                                        ; =>      This Inner Loop Header: Depth=4
	s_add_i32 s41, s41, 1
                                        ; implicit-def: $sgpr43
	s_delay_alu instid0(SALU_CYCLE_1) | instskip(SKIP_1) | instid1(SALU_CYCLE_1)
	s_cmpk_lg_i32 s41, 0x2710
	s_cselect_b32 s42, -1, 0
	s_and_b32 vcc_lo, exec_lo, s42
	s_cbranch_vccz .LBB2_513
.LBB2_510:                              ;   in Loop: Header=BB2_509 Depth=4
	s_and_not1_b32 s40, s40, exec_lo
	s_and_b32 s43, s43, exec_lo
	s_mov_b32 vcc_lo, -1
	s_or_b32 s40, s40, s43
	s_and_saveexec_b32 s43, s42
	s_cbranch_execz .LBB2_508
; %bb.511:                              ;   in Loop: Header=BB2_509 Depth=4
	s_sleep 1
	s_cbranch_execnz .LBB2_1664
; %bb.512:                              ;   in Loop: Header=BB2_509 Depth=4
	ds_load_b64 v[9:10], v0
	s_and_not1_b32 s40, s40, exec_lo
	s_waitcnt lgkmcnt(0)
	v_cmp_ge_u64_e32 vcc_lo, v[9:10], v[12:13]
	s_or_not1_b32 vcc_lo, vcc_lo, exec_lo
	s_branch .LBB2_508
.LBB2_513:                              ;   in Loop: Header=BB2_509 Depth=4
	s_cbranch_execnz .LBB2_1674
; %bb.514:                              ;   in Loop: Header=BB2_509 Depth=4
	ds_load_b64 v[9:10], v0
	s_and_not1_b32 s42, s42, exec_lo
	s_mov_b32 s41, 0
	s_mov_b32 s43, -1
	s_waitcnt lgkmcnt(0)
	flat_load_b32 v2, v[9:10] glc
	s_waitcnt vmcnt(0) lgkmcnt(0)
	buffer_gl1_inv
	buffer_gl0_inv
	v_cmp_eq_u32_e32 vcc_lo, 0, v2
	s_and_b32 vcc_lo, vcc_lo, exec_lo
	s_delay_alu instid0(SALU_CYCLE_1)
	s_or_b32 s42, s42, vcc_lo
	s_branch .LBB2_510
.LBB2_515:                              ;   in Loop: Header=BB2_473 Depth=3
	s_or_b32 exec_lo, exec_lo, s38
	s_and_saveexec_b32 vcc_lo, s39
	s_delay_alu instid0(SALU_CYCLE_1)
	s_xor_b32 vcc_lo, exec_lo, vcc_lo
	s_cbranch_execz .LBB2_517
; %bb.516:                              ;   in Loop: Header=BB2_473 Depth=3
	ds_store_b32 v0, v115
	s_cbranch_execnz .LBB2_1874
.LBB2_517:                              ;   in Loop: Header=BB2_473 Depth=3
	s_or_b32 exec_lo, exec_lo, s37
	;;#ASMSTART
	s_wakeup
	;;#ASMEND
.LBB2_518:                              ;   in Loop: Header=BB2_473 Depth=3
	s_or_b32 exec_lo, exec_lo, s27
.LBB2_519:                              ;   in Loop: Header=BB2_473 Depth=3
	s_and_not1_saveexec_b32 s22, s22
	s_cbranch_execz .LBB2_521
; %bb.520:                              ;   in Loop: Header=BB2_473 Depth=3
	s_waitcnt lgkmcnt(0)
	s_waitcnt_vscnt null, 0x0
	buffer_gl1_inv
	buffer_gl0_inv
	s_barrier
.LBB2_521:                              ;   in Loop: Header=BB2_473 Depth=3
	s_or_b32 exec_lo, exec_lo, s22
	s_mov_b32 s22, s17
	s_mov_b32 s27, s19
	s_mov_b32 s19, s20
	s_mov_b32 s20, s36
.LBB2_522:                              ;   in Loop: Header=BB2_473 Depth=3
	s_delay_alu instid0(SALU_CYCLE_1)
	s_mov_b32 s36, s20
	s_mov_b32 s20, s19
	;; [unrolled: 1-line block ×5, first 2 shown]
	s_or_b32 exec_lo, exec_lo, s13
	s_mov_b32 s27, s22
                                        ; implicit-def: $vgpr2
	s_and_saveexec_b32 s13, s22
	s_delay_alu instid0(SALU_CYCLE_1)
	s_xor_b32 s13, exec_lo, s13
	s_cbranch_execz .LBB2_544
; %bb.523:                              ;   in Loop: Header=BB2_473 Depth=3
	s_and_saveexec_b32 s21, s4
	s_delay_alu instid0(SALU_CYCLE_1)
	s_xor_b32 s21, exec_lo, s21
	s_cbranch_execz .LBB2_541
; %bb.524:                              ;   in Loop: Header=BB2_473 Depth=3
	s_and_saveexec_b32 s22, s1
	s_cbranch_execz .LBB2_540
; %bb.525:                              ;   in Loop: Header=BB2_473 Depth=3
	s_mov_b32 s38, exec_lo
	s_mov_b32 s37, exec_lo
	v_mbcnt_lo_u32_b32 v2, s38, 0
	;;#ASMSTART
	s_waitcnt lgkmcnt(0) vmcnt(0)
	;;#ASMEND
	s_delay_alu instid0(VALU_DEP_1)
	v_cmpx_eq_u32_e32 0, v2
	s_cbranch_execz .LBB2_527
; %bb.526:                              ;   in Loop: Header=BB2_473 Depth=3
	s_bcnt1_i32_b32 vcc_lo, s38
	s_delay_alu instid0(SALU_CYCLE_1)
	v_mov_b32_e32 v2, vcc_lo
	ds_add_u64 v0, v[2:3]
	s_cbranch_execnz .LBB2_1624
.LBB2_527:                              ;   in Loop: Header=BB2_473 Depth=3
	s_or_b32 exec_lo, exec_lo, s37
	s_cbranch_execnz .LBB2_1592
; %bb.528:                              ;   in Loop: Header=BB2_473 Depth=3
	ds_load_b64 v[9:10], v0
	v_add_co_u32 v12, vcc_lo, v12, v71
	v_add_co_ci_u32_e32 v13, vcc_lo, 0, v13, vcc_lo
	s_mov_b32 s37, exec_lo
	s_waitcnt lgkmcnt(0)
	s_delay_alu instid0(VALU_DEP_1)
	v_cmpx_lt_u64_e64 v[9:10], v[12:13]
	s_cbranch_execz .LBB2_539
; %bb.529:                              ;   in Loop: Header=BB2_473 Depth=3
	s_mov_b32 s38, 0
	s_mov_b32 s41, 0
                                        ; implicit-def: $sgpr39
                                        ; implicit-def: $sgpr40
	s_branch .LBB2_531
.LBB2_530:                              ;   in Loop: Header=BB2_531 Depth=4
	s_or_b32 exec_lo, exec_lo, s43
	s_delay_alu instid0(SALU_CYCLE_1) | instskip(NEXT) | instid1(SALU_CYCLE_1)
	s_and_b32 vcc_lo, exec_lo, vcc_lo
	s_or_b32 s38, vcc_lo, s38
	s_and_not1_b32 vcc_lo, s39, exec_lo
	s_and_b32 s39, s40, exec_lo
	s_delay_alu instid0(SALU_CYCLE_1)
	s_or_b32 s39, vcc_lo, s39
	s_and_not1_b32 exec_lo, exec_lo, s38
	s_cbranch_execz .LBB2_537
.LBB2_531:                              ;   Parent Loop BB2_51 Depth=1
                                        ;     Parent Loop BB2_303 Depth=2
                                        ;       Parent Loop BB2_473 Depth=3
                                        ; =>      This Inner Loop Header: Depth=4
	s_add_i32 s41, s41, 1
                                        ; implicit-def: $sgpr43
	s_delay_alu instid0(SALU_CYCLE_1) | instskip(SKIP_1) | instid1(SALU_CYCLE_1)
	s_cmpk_lg_i32 s41, 0x2710
	s_cselect_b32 s42, -1, 0
	s_and_b32 vcc_lo, exec_lo, s42
	s_cbranch_vccz .LBB2_535
.LBB2_532:                              ;   in Loop: Header=BB2_531 Depth=4
	s_and_not1_b32 s40, s40, exec_lo
	s_and_b32 s43, s43, exec_lo
	s_mov_b32 vcc_lo, -1
	s_or_b32 s40, s40, s43
	s_and_saveexec_b32 s43, s42
	s_cbranch_execz .LBB2_530
; %bb.533:                              ;   in Loop: Header=BB2_531 Depth=4
	s_sleep 1
	s_cbranch_execnz .LBB2_1668
; %bb.534:                              ;   in Loop: Header=BB2_531 Depth=4
	ds_load_b64 v[9:10], v0
	s_and_not1_b32 s40, s40, exec_lo
	s_waitcnt lgkmcnt(0)
	v_cmp_ge_u64_e32 vcc_lo, v[9:10], v[12:13]
	s_or_not1_b32 vcc_lo, vcc_lo, exec_lo
	s_branch .LBB2_530
.LBB2_535:                              ;   in Loop: Header=BB2_531 Depth=4
	s_cbranch_execnz .LBB2_1686
; %bb.536:                              ;   in Loop: Header=BB2_531 Depth=4
	ds_load_b64 v[9:10], v0
	s_and_not1_b32 s42, s42, exec_lo
	s_mov_b32 s41, 0
	s_mov_b32 s43, -1
	s_waitcnt lgkmcnt(0)
	s_waitcnt_vscnt null, 0x0
	flat_load_b32 v2, v[9:10] glc
	s_waitcnt vmcnt(0) lgkmcnt(0)
	buffer_gl1_inv
	buffer_gl0_inv
	v_cmp_eq_u32_e32 vcc_lo, 0, v2
	s_and_b32 vcc_lo, vcc_lo, exec_lo
	s_delay_alu instid0(SALU_CYCLE_1)
	s_or_b32 s42, s42, vcc_lo
	s_branch .LBB2_532
.LBB2_537:                              ;   in Loop: Header=BB2_473 Depth=3
	s_or_b32 exec_lo, exec_lo, s38
	s_and_saveexec_b32 vcc_lo, s39
	s_delay_alu instid0(SALU_CYCLE_1)
	s_xor_b32 vcc_lo, exec_lo, vcc_lo
	s_cbranch_execz .LBB2_539
; %bb.538:                              ;   in Loop: Header=BB2_473 Depth=3
	ds_store_b32 v0, v115
	s_cbranch_execnz .LBB2_1878
.LBB2_539:                              ;   in Loop: Header=BB2_473 Depth=3
	s_or_b32 exec_lo, exec_lo, s37
	;;#ASMSTART
	s_wakeup
	;;#ASMEND
.LBB2_540:                              ;   in Loop: Header=BB2_473 Depth=3
	s_or_b32 exec_lo, exec_lo, s22
.LBB2_541:                              ;   in Loop: Header=BB2_473 Depth=3
	s_and_not1_saveexec_b32 s21, s21
	s_cbranch_execz .LBB2_543
; %bb.542:                              ;   in Loop: Header=BB2_473 Depth=3
	;;#ASMSTART
	s_waitcnt lgkmcnt(0) vmcnt(0)
	;;#ASMEND
	s_waitcnt lgkmcnt(0)
	s_waitcnt_vscnt null, 0x0
	s_barrier
.LBB2_543:                              ;   in Loop: Header=BB2_473 Depth=3
	s_or_b32 exec_lo, exec_lo, s21
	v_and_b32_e32 v2, 16, v30
.LBB2_544:                              ;   in Loop: Header=BB2_473 Depth=3
	s_and_not1_saveexec_b32 s21, s13
	s_cbranch_execz .LBB2_549
; %bb.545:                              ;   in Loop: Header=BB2_473 Depth=3
	s_cbranch_execnz .LBB2_1528
; %bb.546:                              ;   in Loop: Header=BB2_473 Depth=3
	ds_load_b32 v2, v0
	v_cmp_lt_i32_e32 vcc_lo, 0, v8
	s_waitcnt lgkmcnt(0)
	v_readfirstlane_b32 s13, v2
	v_and_b32_e32 v2, 16, v30
	s_delay_alu instid0(VALU_DEP_2) | instskip(NEXT) | instid1(VALU_DEP_1)
	s_cmp_eq_u32 s13, 0
	v_cmp_ne_u32_e64 s13, 0, v2
	s_cselect_b32 s22, -1, 0
	v_and_b32_e32 v2, 16, v30
	s_and_b32 s22, vcc_lo, s22
	s_delay_alu instid0(VALU_DEP_2) | instid1(SALU_CYCLE_1)
	s_and_b32 s22, s13, s22
	s_delay_alu instid0(SALU_CYCLE_1)
	s_and_saveexec_b32 s13, s22
	s_cbranch_execz .LBB2_548
; %bb.547:                              ;   in Loop: Header=BB2_473 Depth=3
	v_mov_b32_e32 v2, 1
	s_waitcnt_vscnt null, 0x0
	buffer_gl1_inv
	buffer_gl0_inv
.LBB2_548:                              ;   in Loop: Header=BB2_473 Depth=3
	s_or_b32 exec_lo, exec_lo, s13
.LBB2_549:                              ;   in Loop: Header=BB2_473 Depth=3
	s_delay_alu instid0(SALU_CYCLE_1) | instskip(NEXT) | instid1(VALU_DEP_1)
	s_or_b32 exec_lo, exec_lo, s21
	v_cmp_ne_u32_e32 vcc_lo, 0, v2
	s_xor_b32 s13, s10, -1
	s_delay_alu instid0(SALU_CYCLE_1) | instskip(NEXT) | instid1(SALU_CYCLE_1)
	s_and_b32 s21, vcc_lo, s13
	s_and_saveexec_b32 s13, s21
	s_cbranch_execz .LBB2_551
; %bb.550:                              ;   in Loop: Header=BB2_473 Depth=3
	s_waitcnt lgkmcnt(0)
	s_waitcnt_vscnt null, 0x0
	flat_store_b32 v[26:27], v115
.LBB2_551:                              ;   in Loop: Header=BB2_473 Depth=3
	s_or_b32 exec_lo, exec_lo, s13
	v_and_b32_e32 v2, 48, v30
	s_mov_b32 s13, exec_lo
	s_delay_alu instid0(VALU_DEP_1)
	v_cmpx_ne_u32_e32 0, v2
	s_cbranch_execz .LBB2_553
; %bb.552:                              ;   in Loop: Header=BB2_473 Depth=3
	v_add_co_u32 v22, vcc_lo, v22, 2
	v_add_co_ci_u32_e32 v23, vcc_lo, 0, v23, vcc_lo
	s_waitcnt lgkmcnt(0)
	s_waitcnt_vscnt null, 0x0
	flat_store_b64 v[20:21], v[22:23]
.LBB2_553:                              ;   in Loop: Header=BB2_473 Depth=3
	s_or_b32 exec_lo, exec_lo, s13
	v_add_nc_u32_e32 v65, v8, v65
	s_mov_b32 s13, 0
	s_mov_b32 s21, s14
	;; [unrolled: 1-line block ×7, first 2 shown]
	s_and_not1_b32 exec_lo, exec_lo, s16
	s_cbranch_execnz .LBB2_473
; %bb.554:                              ;   in Loop: Header=BB2_303 Depth=2
	s_or_b32 exec_lo, exec_lo, s16
.LBB2_555:                              ;   in Loop: Header=BB2_303 Depth=2
	s_delay_alu instid0(SALU_CYCLE_1) | instskip(SKIP_1) | instid1(SALU_CYCLE_1)
	s_or_b32 exec_lo, exec_lo, s12
	s_add_i32 s15, s15, 1
	s_cmp_eq_u32 s15, s23
	s_cbranch_scc0 .LBB2_303
; %bb.556:                              ;   in Loop: Header=BB2_51 Depth=1
	v_readlane_b32 s12, v78, 0
.LBB2_557:                              ;   in Loop: Header=BB2_51 Depth=1
	v_mul_lo_u32 v2, v39, s23
	v_mul_lo_u32 v10, v38, s28
	v_mad_u64_u32 v[8:9], null, v38, s23, 0
	s_mov_b32 s17, 0
	v_mov_b32_e32 v119, 0
	s_delay_alu instid0(VALU_DEP_2) | instskip(NEXT) | instid1(VALU_DEP_3)
	v_add3_u32 v9, v9, v10, v2
	v_sub_co_u32 v10, vcc_lo, v48, v8
	s_delay_alu instid0(VALU_DEP_2) | instskip(NEXT) | instid1(VALU_DEP_1)
	v_sub_co_ci_u32_e32 v11, vcc_lo, v49, v9, vcc_lo
	v_cmp_lt_i64_e32 vcc_lo, v[38:39], v[10:11]
	v_cndmask_b32_e32 v10, v10, v38, vcc_lo
	s_delay_alu instid0(VALU_DEP_1) | instskip(SKIP_1) | instid1(VALU_DEP_2)
	v_max_i32_e32 v118, 0, v10
	v_cmp_lt_i32_e32 vcc_lo, 0, v10
	v_add_nc_u32_e32 v2, 31, v118
	s_and_b32 s15, s19, vcc_lo
	s_delay_alu instid0(VALU_DEP_1) | instskip(NEXT) | instid1(VALU_DEP_1)
	v_lshrrev_b32_e32 v2, 1, v2
	v_dual_mov_b32 v2, 0 :: v_dual_and_b32 v11, 0x3ffffff0, v2
	s_delay_alu instid0(VALU_DEP_1)
	v_max_i32_e32 v50, s25, v11
	s_and_saveexec_b32 s13, s15
	s_cbranch_execz .LBB2_776
; %bb.558:                              ;   in Loop: Header=BB2_51 Depth=1
	v_add_co_u32 v128, vcc_lo, v8, v116
	v_add_co_ci_u32_e32 v129, vcc_lo, v9, v117, vcc_lo
	v_mov_b32_e32 v119, 0
	s_mov_b32 s38, 1
	s_mov_b32 s16, -1
	v_writelane_b32 v78, s13, 1
.LBB2_559:                              ;   Parent Loop BB2_51 Depth=1
                                        ; =>  This Loop Header: Depth=2
                                        ;       Child Loop BB2_568 Depth 3
                                        ;       Child Loop BB2_600 Depth 3
	;; [unrolled: 1-line block ×4, first 2 shown]
                                        ;         Child Loop BB2_653 Depth 4
                                        ;       Child Loop BB2_660 Depth 3
                                        ;         Child Loop BB2_661 Depth 4
                                        ;       Child Loop BB2_673 Depth 3
                                        ;       Child Loop BB2_679 Depth 3
                                        ;         Child Loop BB2_680 Depth 4
                                        ;       Child Loop BB2_696 Depth 3
                                        ;       Child Loop BB2_702 Depth 3
	;; [unrolled: 1-line block ×6, first 2 shown]
	s_and_saveexec_b32 s15, s0
	s_cbranch_execz .LBB2_562
; %bb.560:                              ;   in Loop: Header=BB2_559 Depth=2
	s_cbranch_execnz .LBB2_1496
; %bb.561:                              ;   in Loop: Header=BB2_559 Depth=2
	ds_load_2addr_b64 v[8:11], v0 offset1:1
	ds_load_b64 v[51:52], v0
	v_ashrrev_i32_e32 v2, 31, v119
	s_waitcnt lgkmcnt(1)
	v_add_co_u32 v8, vcc_lo, v8, v128
	v_add_co_ci_u32_e32 v9, vcc_lo, v9, v129, vcc_lo
	v_add_co_u32 v10, vcc_lo, v10, v128
	v_add_co_ci_u32_e32 v11, vcc_lo, v11, v129, vcc_lo
	s_waitcnt lgkmcnt(0)
	v_add_co_u32 v53, vcc_lo, v51, v128
	v_add_co_ci_u32_e32 v54, vcc_lo, v52, v129, vcc_lo
	v_add_co_u32 v8, vcc_lo, v8, v119
	v_add_co_ci_u32_e32 v9, vcc_lo, v9, v2, vcc_lo
	s_delay_alu instid0(VALU_DEP_4) | instskip(NEXT) | instid1(VALU_DEP_4)
	v_add_co_u32 v53, vcc_lo, v53, v119
	v_add_co_ci_u32_e32 v54, vcc_lo, v54, v2, vcc_lo
	v_cmp_ne_u64_e32 vcc_lo, 0, v[51:52]
	v_add_co_u32 v10, s13, v10, v119
	s_delay_alu instid0(VALU_DEP_1) | instskip(NEXT) | instid1(VALU_DEP_4)
	v_add_co_ci_u32_e64 v11, s13, v11, v2, s13
	v_dual_cndmask_b32 v52, 0, v54 :: v_dual_cndmask_b32 v51, 0, v53
	ds_store_b64 v0, v[8:9]
	ds_store_b64 v0, v[10:11]
	;; [unrolled: 1-line block ×3, first 2 shown]
.LBB2_562:                              ;   in Loop: Header=BB2_559 Depth=2
	s_or_b32 exec_lo, exec_lo, s15
	v_and_b32_e32 v2, 12, v30
	s_mov_b32 s36, -1
	s_mov_b32 s13, exec_lo
	s_delay_alu instid0(VALU_DEP_1)
	v_cmpx_ne_u32_e32 0, v2
	s_cbranch_execz .LBB2_576
; %bb.563:                              ;   in Loop: Header=BB2_559 Depth=2
	v_and_b32_e32 v2, 8, v30
	s_mov_b32 s15, s38
	s_delay_alu instid0(VALU_DEP_1) | instskip(SKIP_3) | instid1(VALU_DEP_1)
	v_add_co_u32 v10, vcc_lo, v28, v2
	v_add_co_ci_u32_e32 v11, vcc_lo, 0, v29, vcc_lo
	v_add_co_u32 v8, vcc_lo, v22, 2
	v_add_co_ci_u32_e32 v9, vcc_lo, 0, v23, vcc_lo
	v_cmp_lt_u64_e32 vcc_lo, v[10:11], v[8:9]
	v_mov_b32_e32 v10, 1
	s_and_saveexec_b32 s36, vcc_lo
	s_cbranch_execz .LBB2_575
; %bb.564:                              ;   in Loop: Header=BB2_559 Depth=2
	v_mov_b32_e32 v10, 0
	s_mov_b32 s37, 0
                                        ; implicit-def: $sgpr38
	s_branch .LBB2_568
.LBB2_565:                              ;   in Loop: Header=BB2_568 Depth=3
	s_or_b32 exec_lo, exec_lo, s42
	v_mov_b32_e32 v11, 0
	s_or_not1_b32 s41, s41, exec_lo
.LBB2_566:                              ;   in Loop: Header=BB2_568 Depth=3
	s_or_b32 exec_lo, exec_lo, s40
	s_delay_alu instid0(VALU_DEP_1) | instskip(SKIP_2) | instid1(SALU_CYCLE_1)
	v_mov_b32_e32 v10, v11
	s_and_not1_b32 vcc_lo, s38, exec_lo
	s_and_b32 s38, s41, exec_lo
	s_or_b32 s38, vcc_lo, s38
.LBB2_567:                              ;   in Loop: Header=BB2_568 Depth=3
	s_or_b32 exec_lo, exec_lo, s39
	s_waitcnt vmcnt(0) lgkmcnt(0)
	v_add_co_u32 v51, vcc_lo, v28, v2
	v_add_co_ci_u32_e32 v52, vcc_lo, 0, v29, vcc_lo
	s_xor_b32 s39, s38, -1
	s_delay_alu instid0(VALU_DEP_1) | instskip(SKIP_1) | instid1(SALU_CYCLE_1)
	v_cmp_ge_u64_e32 vcc_lo, v[51:52], v[8:9]
	s_or_b32 vcc_lo, s39, vcc_lo
	s_and_b32 vcc_lo, exec_lo, vcc_lo
	s_delay_alu instid0(SALU_CYCLE_1) | instskip(NEXT) | instid1(SALU_CYCLE_1)
	s_or_b32 s37, vcc_lo, s37
	s_and_not1_b32 exec_lo, exec_lo, s37
	s_cbranch_execz .LBB2_574
.LBB2_568:                              ;   Parent Loop BB2_51 Depth=1
                                        ;     Parent Loop BB2_559 Depth=2
                                        ; =>    This Inner Loop Header: Depth=3
	s_sleep 1
	flat_load_b64 v[28:29], v[20:21] glc
	v_and_b32_e32 v11, 64, v30
	s_and_not1_b32 s38, s38, exec_lo
	s_mov_b32 s39, exec_lo
	s_delay_alu instid0(VALU_DEP_1)
	v_cmpx_eq_u32_e32 0, v11
	s_cbranch_execz .LBB2_567
; %bb.569:                              ;   in Loop: Header=BB2_568 Depth=3
	v_add_nc_u32_e32 v11, 1, v10
	s_mov_b32 s41, -1
	s_mov_b32 s40, exec_lo
	v_cmpx_lt_i32_e32 0x270e, v10
	s_cbranch_execz .LBB2_566
; %bb.570:                              ;   in Loop: Header=BB2_568 Depth=3
	s_cbranch_execnz .LBB2_1522
; %bb.571:                              ;   in Loop: Header=BB2_568 Depth=3
	ds_load_b64 v[10:11], v0
	s_mov_b32 s42, exec_lo
	s_waitcnt vmcnt(0) lgkmcnt(0)
	s_waitcnt_vscnt null, 0x0
	flat_load_b32 v10, v[10:11] glc
	s_waitcnt vmcnt(0) lgkmcnt(0)
	buffer_gl1_inv
	buffer_gl0_inv
	v_cmpx_ne_u32_e32 0, v10
	s_cbranch_execz .LBB2_565
; %bb.572:                              ;   in Loop: Header=BB2_568 Depth=3
	ds_store_b32 v0, v10
	s_cbranch_execnz .LBB2_1576
; %bb.573:                              ;   in Loop: Header=BB2_568 Depth=3
	v_or_b32_e32 v30, 64, v30
	s_xor_b32 s41, exec_lo, -1
	s_branch .LBB2_565
.LBB2_574:                              ;   in Loop: Header=BB2_559 Depth=2
	s_or_b32 exec_lo, exec_lo, s37
	v_and_b32_e32 v10, 12, v30
.LBB2_575:                              ;   in Loop: Header=BB2_559 Depth=2
	s_or_b32 exec_lo, exec_lo, s36
	s_delay_alu instid0(VALU_DEP_1)
	v_cmp_eq_u32_e32 vcc_lo, 0, v10
	s_mov_b32 s38, s15
	;;#ASMSTART
	s_wakeup
	;;#ASMEND
	s_or_not1_b32 s36, vcc_lo, exec_lo
.LBB2_576:                              ;   in Loop: Header=BB2_559 Depth=2
	s_or_b32 exec_lo, exec_lo, s13
	v_sub_nc_u32_e32 v2, v118, v119
	s_xor_b32 s13, s36, -1
	s_delay_alu instid0(VALU_DEP_1)
	v_min_i32_e32 v50, v50, v2
	s_and_saveexec_b32 s15, s13
	s_cbranch_execz .LBB2_591
; %bb.577:                              ;   in Loop: Header=BB2_559 Depth=2
	v_and_b32_e32 v2, 0x108, v30
	s_mov_b32 s39, s12
	s_mov_b32 s37, s16
	;; [unrolled: 1-line block ×7, first 2 shown]
	s_mov_b32 s13, exec_lo
	v_cmpx_ne_u32_e32 0x108, v2
	s_xor_b32 s13, exec_lo, s13
                                        ; implicit-def: $vgpr8_vgpr9
; %bb.578:                              ;   in Loop: Header=BB2_559 Depth=2
	v_and_b32_e32 v8, 7, v22
; %bb.579:                              ;   in Loop: Header=BB2_559 Depth=2
	s_and_not1_saveexec_b32 s13, s13
	s_cbranch_execz .LBB2_581
; %bb.580:                              ;   in Loop: Header=BB2_559 Depth=2
	v_and_b32_e32 v8, 7, v22
	v_ashrrev_i32_e32 v51, 31, v50
	s_delay_alu instid0(VALU_DEP_2)
	v_mad_u64_u32 v[9:10], null, v8, 24, v[6:7]
	flat_store_b64 v[9:10], v[50:51] offset:8
.LBB2_581:                              ;   in Loop: Header=BB2_559 Depth=2
	s_or_b32 exec_lo, exec_lo, s13
	v_and_b32_e32 v2, 0x100, v30
	s_mov_b32 s13, -1
	s_mov_b32 s21, exec_lo
                                        ; implicit-def: $vgpr9_vgpr10
	s_delay_alu instid0(VALU_DEP_1)
	v_cmpx_ne_u32_e32 0, v2
	s_cbranch_execnz .LBB2_584
; %bb.582:                              ;   in Loop: Header=BB2_559 Depth=2
	s_or_b32 exec_lo, exec_lo, s21
	s_and_saveexec_b32 s21, s13
	s_cbranch_execnz .LBB2_587
.LBB2_583:                              ;   in Loop: Header=BB2_559 Depth=2
	s_or_b32 exec_lo, exec_lo, s21
	s_cbranch_execnz .LBB2_1516
	s_branch .LBB2_588
.LBB2_584:                              ;   in Loop: Header=BB2_559 Depth=2
	v_mad_u64_u32 v[51:52], null, v8, 24, v[6:7]
	s_mov_b32 s22, exec_lo
	s_delay_alu instid0(VALU_DEP_1) | instskip(NEXT) | instid1(VALU_DEP_1)
	v_mov_b32_e32 v2, v52
	v_mad_u64_u32 v[9:10], null, v3, 24, v[2:3]
	s_delay_alu instid0(VALU_DEP_1)
	v_mov_b32_e32 v52, v9
                                        ; implicit-def: $vgpr9_vgpr10
	flat_load_b32 v2, v[51:52]
	s_waitcnt vmcnt(0) lgkmcnt(0)
	v_cmp_ne_u32_e32 vcc_lo, 1, v2
	v_cmpx_eq_u32_e32 1, v2
	s_cbranch_execz .LBB2_586
; %bb.585:                              ;   in Loop: Header=BB2_559 Depth=2
	flat_load_b32 v9, v[51:52] offset:4 glc
	s_waitcnt vmcnt(0) lgkmcnt(0)
	v_ashrrev_i32_e32 v10, 31, v9
.LBB2_586:                              ;   in Loop: Header=BB2_559 Depth=2
	s_or_b32 exec_lo, exec_lo, s22
	s_delay_alu instid0(SALU_CYCLE_1)
	s_or_not1_b32 s13, vcc_lo, exec_lo
	s_or_b32 exec_lo, exec_lo, s21
	s_and_saveexec_b32 s21, s13
	s_cbranch_execz .LBB2_583
.LBB2_587:                              ;   in Loop: Header=BB2_559 Depth=2
	v_mul_lo_u32 v2, v3, v68
	v_mul_lo_u32 v11, v8, v70
	v_mad_u64_u32 v[9:10], null, v8, v68, 0
	s_delay_alu instid0(VALU_DEP_1)
	v_add3_u32 v10, v10, v11, v2
	s_or_b32 exec_lo, exec_lo, s21
	s_cbranch_execnz .LBB2_1516
.LBB2_588:                              ;   in Loop: Header=BB2_559 Depth=2
	s_delay_alu instid0(VALU_DEP_2)
	v_add_co_u32 v8, vcc_lo, v24, v9
	v_and_b32_e32 v2, 0x2000, v30
	v_add_co_ci_u32_e32 v9, vcc_lo, v25, v10, vcc_lo
	s_mov_b32 s13, exec_lo
	ds_store_b64 v0, v[8:9]
	v_cmpx_ne_u32_e32 0, v2
	s_cbranch_execz .LBB2_590
; %bb.589:                              ;   in Loop: Header=BB2_559 Depth=2
	ds_load_b64 v[8:9], v0 offset:584
	s_waitcnt lgkmcnt(0)
	v_add_co_u32 v8, vcc_lo, v8, 1
	v_add_co_ci_u32_e32 v9, vcc_lo, 0, v9, vcc_lo
	ds_store_b64 v0, v[8:9] offset:584
.LBB2_590:                              ;   in Loop: Header=BB2_559 Depth=2
	s_or_b32 exec_lo, exec_lo, s13
	v_add_co_u32 v22, vcc_lo, v22, 2
	v_add_co_ci_u32_e32 v23, vcc_lo, 0, v23, vcc_lo
	s_mov_b32 s21, s14
	s_mov_b32 s14, s12
	;; [unrolled: 1-line block ×7, first 2 shown]
.LBB2_591:                              ;   in Loop: Header=BB2_559 Depth=2
	v_writelane_b32 v78, s16, 2
	v_writelane_b32 v78, s38, 3
	;; [unrolled: 1-line block ×17, first 2 shown]
	v_writelane_b32 v78, vcc_hi, 19
	v_writelane_b32 v78, s27, 20
	v_writelane_b32 v78, s19, 21
	;; [unrolled: 1-line block ×3, first 2 shown]
	s_or_b32 exec_lo, exec_lo, s15
	s_and_saveexec_b32 s13, s3
	s_cbranch_execz .LBB2_613
; %bb.592:                              ;   in Loop: Header=BB2_559 Depth=2
	s_and_saveexec_b32 s14, s4
	s_delay_alu instid0(SALU_CYCLE_1)
	s_xor_b32 s14, exec_lo, s14
	s_cbranch_execz .LBB2_610
; %bb.593:                              ;   in Loop: Header=BB2_559 Depth=2
	s_and_saveexec_b32 s15, s1
	s_cbranch_execz .LBB2_609
; %bb.594:                              ;   in Loop: Header=BB2_559 Depth=2
	s_mov_b32 s17, exec_lo
	s_mov_b32 s16, exec_lo
	v_mbcnt_lo_u32_b32 v2, s17, 0
	s_waitcnt lgkmcnt(0)
	s_waitcnt_vscnt null, 0x0
	buffer_gl1_inv
	buffer_gl0_inv
	v_cmpx_eq_u32_e32 0, v2
	s_cbranch_execz .LBB2_596
; %bb.595:                              ;   in Loop: Header=BB2_559 Depth=2
	s_bcnt1_i32_b32 s17, s17
	s_delay_alu instid0(SALU_CYCLE_1)
	v_mov_b32_e32 v2, s17
	ds_add_u64 v0, v[2:3]
	s_cbranch_execnz .LBB2_1630
.LBB2_596:                              ;   in Loop: Header=BB2_559 Depth=2
	s_or_b32 exec_lo, exec_lo, s16
	s_cbranch_execnz .LBB2_1604
; %bb.597:                              ;   in Loop: Header=BB2_559 Depth=2
	ds_load_b64 v[8:9], v0
	v_add_co_u32 v12, vcc_lo, v12, v71
	v_add_co_ci_u32_e32 v13, vcc_lo, 0, v13, vcc_lo
	s_mov_b32 s16, exec_lo
	s_waitcnt lgkmcnt(0)
	s_delay_alu instid0(VALU_DEP_1)
	v_cmpx_lt_u64_e64 v[8:9], v[12:13]
	s_cbranch_execz .LBB2_608
; %bb.598:                              ;   in Loop: Header=BB2_559 Depth=2
	s_mov_b32 s17, 0
	s_mov_b32 s20, 0
                                        ; implicit-def: $sgpr18
                                        ; implicit-def: $sgpr19
	s_branch .LBB2_600
.LBB2_599:                              ;   in Loop: Header=BB2_600 Depth=3
	s_or_b32 exec_lo, exec_lo, s23
	s_delay_alu instid0(SALU_CYCLE_1) | instskip(NEXT) | instid1(SALU_CYCLE_1)
	s_and_b32 s21, exec_lo, s22
	s_or_b32 s17, s21, s17
	s_and_not1_b32 s18, s18, exec_lo
	s_and_b32 s21, s19, exec_lo
	s_delay_alu instid0(SALU_CYCLE_1)
	s_or_b32 s18, s18, s21
	s_and_not1_b32 exec_lo, exec_lo, s17
	s_cbranch_execz .LBB2_606
.LBB2_600:                              ;   Parent Loop BB2_51 Depth=1
                                        ;     Parent Loop BB2_559 Depth=2
                                        ; =>    This Inner Loop Header: Depth=3
	s_add_i32 s20, s20, 1
                                        ; implicit-def: $sgpr22
	s_delay_alu instid0(SALU_CYCLE_1) | instskip(SKIP_1) | instid1(SALU_CYCLE_1)
	s_cmpk_lg_i32 s20, 0x2710
	s_cselect_b32 s21, -1, 0
	s_and_b32 vcc_lo, exec_lo, s21
	s_cbranch_vccz .LBB2_604
.LBB2_601:                              ;   in Loop: Header=BB2_600 Depth=3
	s_and_not1_b32 s19, s19, exec_lo
	s_and_b32 s23, s22, exec_lo
	s_mov_b32 s22, -1
	s_or_b32 s19, s19, s23
	s_and_saveexec_b32 s23, s21
	s_cbranch_execz .LBB2_599
; %bb.602:                              ;   in Loop: Header=BB2_600 Depth=3
	s_sleep 1
	s_cbranch_execnz .LBB2_1678
; %bb.603:                              ;   in Loop: Header=BB2_600 Depth=3
	ds_load_b64 v[8:9], v0
	s_and_not1_b32 s19, s19, exec_lo
	s_waitcnt lgkmcnt(0)
	v_cmp_ge_u64_e32 vcc_lo, v[8:9], v[12:13]
	s_or_not1_b32 s22, vcc_lo, exec_lo
	s_branch .LBB2_599
.LBB2_604:                              ;   in Loop: Header=BB2_600 Depth=3
	s_cbranch_execnz .LBB2_1692
; %bb.605:                              ;   in Loop: Header=BB2_600 Depth=3
	ds_load_b64 v[8:9], v0
	s_and_not1_b32 s21, s21, exec_lo
	s_mov_b32 s20, 0
	s_mov_b32 s22, -1
	s_waitcnt lgkmcnt(0)
	flat_load_b32 v2, v[8:9] glc
	s_waitcnt vmcnt(0) lgkmcnt(0)
	buffer_gl1_inv
	buffer_gl0_inv
	v_cmp_eq_u32_e32 vcc_lo, 0, v2
	s_and_b32 s23, vcc_lo, exec_lo
	s_delay_alu instid0(SALU_CYCLE_1)
	s_or_b32 s21, s21, s23
	s_branch .LBB2_601
.LBB2_606:                              ;   in Loop: Header=BB2_559 Depth=2
	s_or_b32 exec_lo, exec_lo, s17
	s_and_saveexec_b32 s17, s18
	s_delay_alu instid0(SALU_CYCLE_1)
	s_xor_b32 s17, exec_lo, s17
	s_cbranch_execz .LBB2_608
; %bb.607:                              ;   in Loop: Header=BB2_559 Depth=2
	ds_store_b32 v0, v115
	s_cbranch_execnz .LBB2_1884
.LBB2_608:                              ;   in Loop: Header=BB2_559 Depth=2
	s_or_b32 exec_lo, exec_lo, s16
	;;#ASMSTART
	s_wakeup
	;;#ASMEND
.LBB2_609:                              ;   in Loop: Header=BB2_559 Depth=2
	s_or_b32 exec_lo, exec_lo, s15
.LBB2_610:                              ;   in Loop: Header=BB2_559 Depth=2
	s_and_not1_saveexec_b32 s14, s14
	s_cbranch_execz .LBB2_612
; %bb.611:                              ;   in Loop: Header=BB2_559 Depth=2
	s_waitcnt lgkmcnt(0)
	s_waitcnt_vscnt null, 0x0
	buffer_gl1_inv
	buffer_gl0_inv
	s_barrier
.LBB2_612:                              ;   in Loop: Header=BB2_559 Depth=2
	s_or_b32 exec_lo, exec_lo, s14
.LBB2_613:                              ;   in Loop: Header=BB2_559 Depth=2
	s_delay_alu instid0(SALU_CYCLE_1)
	s_or_b32 exec_lo, exec_lo, s13
	s_cbranch_execnz .LBB2_1502
; %bb.614:                              ;   in Loop: Header=BB2_559 Depth=2
	ds_load_b32 v8, v0
	v_and_b32_e32 v2, 0x4000, v30
	s_xor_b32 s13, s2, -1
	s_delay_alu instid0(VALU_DEP_1) | instskip(SKIP_1) | instid1(SALU_CYCLE_1)
	v_cmp_ne_u32_e32 vcc_lo, 0, v2
	s_and_b32 s14, s13, vcc_lo
	s_and_saveexec_b32 s13, s14
	s_cbranch_execz .LBB2_636
; %bb.615:                              ;   in Loop: Header=BB2_559 Depth=2
	s_and_saveexec_b32 s14, s4
	s_delay_alu instid0(SALU_CYCLE_1)
	s_xor_b32 s14, exec_lo, s14
	s_cbranch_execz .LBB2_633
; %bb.616:                              ;   in Loop: Header=BB2_559 Depth=2
	s_and_saveexec_b32 s15, s1
	s_cbranch_execz .LBB2_632
; %bb.617:                              ;   in Loop: Header=BB2_559 Depth=2
	s_mov_b32 s17, exec_lo
	s_mov_b32 s16, exec_lo
	v_mbcnt_lo_u32_b32 v2, s17, 0
	s_waitcnt lgkmcnt(0)
	s_waitcnt_vscnt null, 0x0
	buffer_gl1_inv
	buffer_gl0_inv
	v_cmpx_eq_u32_e32 0, v2
	s_cbranch_execz .LBB2_619
; %bb.618:                              ;   in Loop: Header=BB2_559 Depth=2
	s_bcnt1_i32_b32 s17, s17
	s_delay_alu instid0(SALU_CYCLE_1)
	v_mov_b32_e32 v2, s17
	ds_add_u64 v0, v[2:3]
	s_cbranch_execnz .LBB2_1670
.LBB2_619:                              ;   in Loop: Header=BB2_559 Depth=2
	s_or_b32 exec_lo, exec_lo, s16
	s_cbranch_execnz .LBB2_1640
; %bb.620:                              ;   in Loop: Header=BB2_559 Depth=2
	ds_load_b64 v[9:10], v0
	v_add_co_u32 v12, vcc_lo, v12, v71
	v_add_co_ci_u32_e32 v13, vcc_lo, 0, v13, vcc_lo
	s_mov_b32 s16, exec_lo
	s_waitcnt lgkmcnt(0)
	s_delay_alu instid0(VALU_DEP_1)
	v_cmpx_lt_u64_e64 v[9:10], v[12:13]
	s_cbranch_execz .LBB2_631
; %bb.621:                              ;   in Loop: Header=BB2_559 Depth=2
	s_mov_b32 s17, 0
	s_mov_b32 s20, 0
                                        ; implicit-def: $sgpr18
                                        ; implicit-def: $sgpr19
	s_branch .LBB2_623
.LBB2_622:                              ;   in Loop: Header=BB2_623 Depth=3
	s_or_b32 exec_lo, exec_lo, s23
	s_delay_alu instid0(SALU_CYCLE_1) | instskip(NEXT) | instid1(SALU_CYCLE_1)
	s_and_b32 s21, exec_lo, s22
	s_or_b32 s17, s21, s17
	s_and_not1_b32 s18, s18, exec_lo
	s_and_b32 s21, s19, exec_lo
	s_delay_alu instid0(SALU_CYCLE_1)
	s_or_b32 s18, s18, s21
	s_and_not1_b32 exec_lo, exec_lo, s17
	s_cbranch_execz .LBB2_629
.LBB2_623:                              ;   Parent Loop BB2_51 Depth=1
                                        ;     Parent Loop BB2_559 Depth=2
                                        ; =>    This Inner Loop Header: Depth=3
	s_add_i32 s20, s20, 1
                                        ; implicit-def: $sgpr22
	s_delay_alu instid0(SALU_CYCLE_1) | instskip(SKIP_1) | instid1(SALU_CYCLE_1)
	s_cmpk_lg_i32 s20, 0x2710
	s_cselect_b32 s21, -1, 0
	s_and_b32 vcc_lo, exec_lo, s21
	s_cbranch_vccz .LBB2_627
.LBB2_624:                              ;   in Loop: Header=BB2_623 Depth=3
	s_and_not1_b32 s19, s19, exec_lo
	s_and_b32 s23, s22, exec_lo
	s_mov_b32 s22, -1
	s_or_b32 s19, s19, s23
	s_and_saveexec_b32 s23, s21
	s_cbranch_execz .LBB2_622
; %bb.625:                              ;   in Loop: Header=BB2_623 Depth=3
	s_sleep 1
	s_cbranch_execnz .LBB2_1730
; %bb.626:                              ;   in Loop: Header=BB2_623 Depth=3
	ds_load_b64 v[9:10], v0
	s_and_not1_b32 s19, s19, exec_lo
	s_waitcnt lgkmcnt(0)
	v_cmp_ge_u64_e32 vcc_lo, v[9:10], v[12:13]
	s_or_not1_b32 s22, vcc_lo, exec_lo
	s_branch .LBB2_622
.LBB2_627:                              ;   in Loop: Header=BB2_623 Depth=3
	s_cbranch_execnz .LBB2_1746
; %bb.628:                              ;   in Loop: Header=BB2_623 Depth=3
	ds_load_b64 v[9:10], v0
	s_and_not1_b32 s21, s21, exec_lo
	s_mov_b32 s20, 0
	s_mov_b32 s22, -1
	s_waitcnt lgkmcnt(0)
	flat_load_b32 v2, v[9:10] glc
	s_waitcnt vmcnt(0) lgkmcnt(0)
	buffer_gl1_inv
	buffer_gl0_inv
	v_cmp_eq_u32_e32 vcc_lo, 0, v2
	s_and_b32 s23, vcc_lo, exec_lo
	s_delay_alu instid0(SALU_CYCLE_1)
	s_or_b32 s21, s21, s23
	s_branch .LBB2_624
.LBB2_629:                              ;   in Loop: Header=BB2_559 Depth=2
	s_or_b32 exec_lo, exec_lo, s17
	s_and_saveexec_b32 s17, s18
	s_delay_alu instid0(SALU_CYCLE_1)
	s_xor_b32 s17, exec_lo, s17
	s_cbranch_execz .LBB2_631
; %bb.630:                              ;   in Loop: Header=BB2_559 Depth=2
	ds_store_b32 v0, v115
	s_cbranch_execnz .LBB2_1908
.LBB2_631:                              ;   in Loop: Header=BB2_559 Depth=2
	s_or_b32 exec_lo, exec_lo, s16
	;;#ASMSTART
	s_wakeup
	;;#ASMEND
.LBB2_632:                              ;   in Loop: Header=BB2_559 Depth=2
	s_or_b32 exec_lo, exec_lo, s15
.LBB2_633:                              ;   in Loop: Header=BB2_559 Depth=2
	s_and_not1_saveexec_b32 s14, s14
	s_cbranch_execz .LBB2_635
; %bb.634:                              ;   in Loop: Header=BB2_559 Depth=2
	s_waitcnt lgkmcnt(0)
	s_waitcnt_vscnt null, 0x0
	buffer_gl1_inv
	buffer_gl0_inv
	s_barrier
.LBB2_635:                              ;   in Loop: Header=BB2_559 Depth=2
	s_or_b32 exec_lo, exec_lo, s14
.LBB2_636:                              ;   in Loop: Header=BB2_559 Depth=2
	s_delay_alu instid0(SALU_CYCLE_1)
	s_or_b32 exec_lo, exec_lo, s13
	s_cbranch_execnz .LBB2_1536
; %bb.637:                              ;   in Loop: Header=BB2_559 Depth=2
	ds_load_b64 v[9:10], v0
	v_mov_b32_e32 v130, 0
	s_waitcnt lgkmcnt(0)
	v_cmp_eq_u64_e32 vcc_lo, 0, v[9:10]
	s_or_b32 s13, vcc_lo, vcc_lo
	s_delay_alu instid0(SALU_CYCLE_1)
	s_and_b32 vcc_lo, exec_lo, s13
	s_cbranch_vccnz .LBB2_722
; %bb.638:                              ;   in Loop: Header=BB2_559 Depth=2
	v_cmp_eq_u32_e32 vcc_lo, 0, v8
	s_cbranch_execnz .LBB2_1596
; %bb.639:                              ;   in Loop: Header=BB2_559 Depth=2
	ds_load_b64 v[51:52], v0
	v_cndmask_b32_e32 v130, 0, v50, vcc_lo
	s_waitcnt lgkmcnt(0)
	v_cmp_ne_u64_e64 s13, 0, v[51:52]
	s_delay_alu instid0(VALU_DEP_1)
	s_and_b32 vcc_lo, exec_lo, s13
	s_cbranch_vccz .LBB2_646
; %bb.640:                              ;   in Loop: Header=BB2_559 Depth=2
	s_mov_b32 s13, -1
	s_and_saveexec_b32 s14, s12
	s_cbranch_execz .LBB2_642
; %bb.641:                              ;   in Loop: Header=BB2_559 Depth=2
	ds_load_b32 v2, v0 offset:720
	s_waitcnt lgkmcnt(0)
	v_and_b32_e32 v2, 15, v2
	s_delay_alu instid0(VALU_DEP_1)
	v_cmp_eq_u32_e32 vcc_lo, 0, v2
	s_or_not1_b32 s13, vcc_lo, exec_lo
.LBB2_642:                              ;   in Loop: Header=BB2_559 Depth=2
	s_or_b32 exec_lo, exec_lo, s14
	s_and_saveexec_b32 s14, s12
	s_cbranch_execz .LBB2_644
; %bb.643:                              ;   in Loop: Header=BB2_559 Depth=2
	ds_load_b32 v2, v0 offset:784
	s_waitcnt lgkmcnt(0)
	v_and_b32_e32 v2, 15, v2
	s_delay_alu instid0(VALU_DEP_1) | instskip(SKIP_3) | instid1(SALU_CYCLE_1)
	v_cmp_eq_u32_e32 vcc_lo, 0, v2
	s_and_b32 s15, s13, vcc_lo
	s_and_not1_b32 s13, s13, exec_lo
	s_and_b32 s15, s15, exec_lo
	s_or_b32 s13, s13, s15
.LBB2_644:                              ;   in Loop: Header=BB2_559 Depth=2
	s_or_b32 exec_lo, exec_lo, s14
	s_xor_b32 s13, s13, -1
	s_delay_alu instid0(SALU_CYCLE_1) | instskip(SKIP_1) | instid1(VALU_DEP_1)
	v_cndmask_b32_e64 v2, 0, 1, s13
	;;#ASMSTART
	;;#ASMEND
	v_cmp_ne_u32_e32 vcc_lo, 0, v2
	s_mov_b32 s13, -1
	s_cbranch_vccz .LBB2_647
; %bb.645:                              ;   in Loop: Header=BB2_559 Depth=2
	v_alignbit_b32 v2, v51, v51, 1
	s_mov_b32 s13, 0
	s_mov_b32 s31, -1
	s_delay_alu instid0(VALU_DEP_1) | instskip(SKIP_1) | instid1(VALU_DEP_2)
	v_readfirstlane_b32 s14, v2
	v_readfirstlane_b32 s30, v2
	s_and_b32 vcc_hi, s14, 0x7fffffff
	s_mov_b32 s14, 0
	s_branch .LBB2_648
.LBB2_646:                              ;   in Loop: Header=BB2_559 Depth=2
	s_mov_b32 s13, -1
	s_branch .LBB2_684
.LBB2_647:                              ;   in Loop: Header=BB2_559 Depth=2
	s_mov_b32 s31, 0
                                        ; implicit-def: $sgpr14
                                        ; implicit-def: $sgpr30
                                        ; implicit-def: $vcc_hi
.LBB2_648:                              ;   in Loop: Header=BB2_559 Depth=2
	s_and_not1_b32 vcc_lo, exec_lo, s13
	s_cbranch_vccnz .LBB2_668
; %bb.649:                              ;   in Loop: Header=BB2_559 Depth=2
	v_ashrrev_i32_e32 v2, 31, v130
	v_alignbit_b32 v9, v51, v51, 1
	v_sub_nc_u32_e32 v131, v130, v112
	s_mov_b32 s34, exec_lo
	s_delay_alu instid0(VALU_DEP_3) | instskip(NEXT) | instid1(VALU_DEP_3)
	v_lshrrev_b32_e32 v2, 23, v2
	v_readfirstlane_b32 s14, v9
	v_readfirstlane_b32 s30, v9
	s_delay_alu instid0(VALU_DEP_3) | instskip(NEXT) | instid1(VALU_DEP_3)
	v_add_nc_u32_e32 v8, v130, v2
	s_and_b32 vcc_hi, s14, 0x7fffffff
	s_delay_alu instid0(VALU_DEP_1) | instskip(SKIP_1) | instid1(VALU_DEP_2)
	v_and_b32_e32 v2, 0xfffffe00, v8
	v_ashrrev_i32_e32 v8, 9, v8
	v_sub_nc_u32_e32 v132, v130, v2
	s_delay_alu instid0(VALU_DEP_1) | instskip(NEXT) | instid1(VALU_DEP_1)
	v_cmp_lt_i32_e64 s13, 15, v132
	v_add_co_ci_u32_e64 v133, vcc_lo, v8, v113, s13
	v_cmpx_lt_i32_e32 15, v131
	s_cbranch_execz .LBB2_656
; %bb.650:                              ;   in Loop: Header=BB2_559 Depth=2
	v_cvt_f32_u32_e32 v8, vcc_hi
	s_sub_i32 s15, 0, vcc_hi
	s_mov_b32 s35, 0
	s_delay_alu instid0(VALU_DEP_1) | instskip(SKIP_2) | instid1(VALU_DEP_1)
	v_rcp_iflag_f32_e32 v8, v8
	s_waitcnt_depctr 0xfff
	v_mul_f32_e32 v8, 0x4f7ffffe, v8
	v_cvt_u32_f32_e32 v8, v8
	s_delay_alu instid0(VALU_DEP_1) | instskip(NEXT) | instid1(VALU_DEP_1)
	v_readfirstlane_b32 s14, v8
	s_mul_i32 s15, s15, s14
	s_delay_alu instid0(SALU_CYCLE_1) | instskip(NEXT) | instid1(SALU_CYCLE_1)
	s_mul_hi_u32 s15, s14, s15
	s_add_i32 s14, s14, s15
	s_delay_alu instid0(SALU_CYCLE_1) | instskip(NEXT) | instid1(SALU_CYCLE_1)
	s_mul_hi_u32 s14, s14, -1
	s_mul_i32 s15, s14, vcc_hi
	s_add_i32 s16, s14, 1
	s_not_b32 s15, s15
	s_delay_alu instid0(SALU_CYCLE_1)
	s_sub_i32 s17, s15, vcc_hi
	s_cmp_ge_u32 s15, vcc_hi
	s_cselect_b32 s14, s16, s14
	s_cselect_b32 s15, s17, s15
	s_add_i32 s16, s14, 1
	s_cmp_ge_u32 s15, vcc_hi
	s_cselect_b32 s36, s16, s14
	s_cbranch_execnz .LBB2_1752
; %bb.651:                              ;   in Loop: Header=BB2_559 Depth=2
	ds_load_b128 v[8:11], v0
	s_cmp_lt_i32 s30, 0
	s_cselect_b32 s37, -1, 0
	s_waitcnt lgkmcnt(0)
	v_add_co_u32 v52, vcc_lo, v8, v112
	v_add_co_ci_u32_e32 v53, vcc_lo, v9, v114, vcc_lo
	v_add_co_u32 v54, vcc_lo, v10, v112
	v_add_co_ci_u32_e32 v55, vcc_lo, v11, v114, vcc_lo
	s_delay_alu instid0(VALU_DEP_3) | instskip(NEXT) | instid1(VALU_DEP_2)
	v_dual_mov_b32 v65, v53 :: v_dual_mov_b32 v64, v52
	v_dual_mov_b32 v67, v55 :: v_dual_mov_b32 v66, v54
.LBB2_652:                              ;   Parent Loop BB2_51 Depth=1
                                        ;     Parent Loop BB2_559 Depth=2
                                        ; =>    This Loop Header: Depth=3
                                        ;         Child Loop BB2_653 Depth 4
	global_load_b128 v[8:11], v[64:65], off slc dlc
	global_load_b128 v[144:147], v[66:67], off slc dlc
	s_waitcnt vmcnt(1)
	v_and_b32_e32 v134, 0xff00ff, v8
	s_waitcnt vmcnt(0)
	v_and_b32_e32 v135, 0xff00ff, v144
	v_and_b32_e32 v8, 0xff00ff00, v8
	;; [unrolled: 1-line block ×5, first 2 shown]
	v_add_co_u32 v134, null, v135, v134
	s_delay_alu instid0(VALU_DEP_4) | instskip(SKIP_1) | instid1(VALU_DEP_4)
	v_add_nc_u32_e32 v8, v144, v8
	v_and_b32_e32 v10, 0xff00ff00, v10
	v_add_co_u32 v144, null, v151, v150
	s_delay_alu instid0(VALU_DEP_4)
	v_bfe_i32 v150, v134, 0, 8
	v_and_b32_e32 v146, 0xff00ff00, v146
	v_and_b32_e32 v148, 0xff00ff, v9
	;; [unrolled: 1-line block ×4, first 2 shown]
	v_cmp_gt_i16_e64 vcc_lo, 0, v150
	v_and_b32_e32 v161, 0xff00ff, v147
	v_add_nc_u32_e32 v10, v146, v10
	v_perm_b32 v146, v8, v134, 0x7020500
	v_and_b32_e32 v11, 0xff00ff00, v11
	s_and_b32 vcc_lo, s37, vcc_lo
	v_and_b32_e32 v149, 0xff00ff, v145
	v_and_b32_e32 v145, 0xff00ff00, v145
	;; [unrolled: 1-line block ×3, first 2 shown]
	v_sub_nc_u16 v151, 0, v134
	v_and_b32_e32 v150, 0x8000, v146
	v_add_co_u32 v135, null, v149, v148
	v_add_nc_u32_e32 v9, v145, v9
	v_add_co_u32 v145, null, v161, v160
	v_lshrrev_b32_e32 v160, 8, v8
	v_lshrrev_b32_e32 v8, 24, v8
	v_and_b32_e32 v146, s30, v146
	v_add_nc_u32_e32 v11, v147, v11
	v_perm_b32 v147, v9, v135, 0x7020500
	v_lshrrev_b32_e32 v161, 16, v134
	v_bfe_i32 v162, v135, 0, 8
	v_cndmask_b32_e32 v134, v134, v151, vcc_lo
	v_sub_nc_u16 v41, 0, v8
	v_cmp_lt_i32_e64 s19, -1, v146
	v_sub_nc_u16 v163, 0, v135
	v_cmp_gt_i16_e64 s14, 0, v162
	v_and_b32_e32 v162, 0x8000, v147
	v_and_b32_e32 v134, 0xff, v134
	v_cndmask_b32_e64 v8, v41, v8, s19
	v_perm_b32 v148, v10, v144, 0x7020500
	v_lshrrev_b32_e32 v164, 8, v9
	v_lshrrev_b32_e32 v9, 24, v9
	v_bfe_i32 v166, v144, 0, 8
	v_and_b32_e32 v147, s30, v147
	s_and_b32 s14, s37, s14
	v_cmp_ne_u32_e64 s20, 0, v162
	v_mul_hi_u32 v162, v134, s36
	v_lshrrev_b32_e32 v165, 16, v135
	v_and_b32_e32 v8, 0xff, v8
	v_cndmask_b32_e64 v135, v135, v163, s14
	v_sub_nc_u16 v42, 0, v164
	v_sub_nc_u16 v45, 0, v9
	v_cmp_gt_i16_e64 s15, 0, v166
	v_and_b32_e32 v166, 0x8000, v148
	v_and_b32_e32 v148, s30, v148
	v_cmp_lt_i32_e64 s22, -1, v147
	v_bfe_i32 v43, v165, 0, 8
	s_and_b32 s20, s37, s20
	v_mul_hi_u32 v163, v8, s36
	v_and_b32_e32 v135, 0xff, v135
	v_perm_b32 v149, v11, v145, 0x7020500
	v_bfe_i32 v178, v145, 0, 8
	v_cndmask_b32_e64 v9, v45, v9, s22
	v_cmp_lt_i32_e64 s25, -1, v148
	v_cndmask_b32_e64 v148, v164, v42, s20
	v_mul_lo_u32 v42, vcc_hi, v162
	v_sub_nc_u16 v167, 0, v144
	v_lshrrev_b32_e32 v176, 8, v10
	v_lshrrev_b32_e32 v10, 24, v10
	v_cmp_gt_i16_e64 s21, 0, v43
	s_and_b32 s15, s37, s15
	v_mul_hi_u32 v164, v135, s36
	v_sub_nc_u16 v44, 0, v165
	v_cmp_gt_i16_e64 s16, 0, v178
	v_and_b32_e32 v178, 0x8000, v149
	v_and_b32_e32 v149, s30, v149
	;; [unrolled: 1-line block ×3, first 2 shown]
	v_lshrrev_b32_e32 v177, 16, v144
	v_cndmask_b32_e64 v144, v144, v167, s15
	v_mul_lo_u32 v43, vcc_hi, v163
	v_sub_nc_u16 v57, 0, v10
	s_and_b32 s21, s37, s21
	v_sub_nc_u32_e32 v134, v134, v42
	v_cmp_lt_i32_e64 s28, -1, v149
	v_cndmask_b32_e64 v149, v165, v44, s21
	v_mul_hi_u32 v165, v9, s36
	v_and_b32_e32 v144, 0xff, v144
	v_cndmask_b32_e64 v10, v57, v10, s25
	v_mul_lo_u32 v44, vcc_hi, v164
	v_sub_nc_u16 v179, 0, v145
	v_cmp_le_u32_e64 s29, vcc_hi, v134
	v_lshrrev_b32_e32 v180, 8, v11
	v_lshrrev_b32_e32 v11, 24, v11
	v_sub_nc_u32_e32 v8, v8, v43
	v_cmp_ne_u32_e64 s23, 0, v166
	s_and_b32 s16, s37, s16
	v_mul_hi_u32 v166, v144, s36
	v_and_b32_e32 v10, 0xff, v10
	v_lshrrev_b32_e32 v181, 16, v145
	v_cndmask_b32_e64 v145, v145, v179, s16
	v_mul_lo_u32 v45, vcc_hi, v165
	v_add_co_ci_u32_e64 v134, s29, 0, v162, s29
	v_sub_nc_u16 v46, 0, v176
	v_sub_nc_u16 v61, 0, v11
	v_cmp_le_u32_e64 s29, vcc_hi, v8
	v_sub_nc_u32_e32 v135, v135, v44
	v_bfe_i32 v47, v177, 0, 8
	s_and_b32 s23, s37, s23
	v_mul_hi_u32 v167, v10, s36
	v_cmp_ne_u32_e64 s17, 0, v150
	v_and_b32_e32 v145, 0xff, v145
	v_bfe_i32 v183, v161, 0, 8
	v_cndmask_b32_e64 v11, v61, v11, s28
	v_cndmask_b32_e64 v150, v176, v46, s23
	v_mul_lo_u32 v46, vcc_hi, v166
	v_add_co_ci_u32_e64 v8, s29, 0, v163, s29
	v_sub_nc_u16 v182, 0, v160
	v_cmp_le_u32_e64 s29, vcc_hi, v135
	v_sub_nc_u32_e32 v9, v9, v45
	v_cmp_gt_i16_e64 s24, 0, v47
	s_and_b32 s17, s37, s17
	v_mul_hi_u32 v176, v145, s36
	v_sub_nc_u16 v56, 0, v177
	v_cmp_gt_i16_e64 s18, 0, v183
	v_and_b32_e32 v11, 0xff, v11
	v_cndmask_b32_e64 v146, v160, v182, s17
	v_mul_lo_u32 v47, vcc_hi, v167
	v_add_co_ci_u32_e64 v135, s29, 0, v164, s29
	v_sub_nc_u16 v40, 0, v161
	v_cmp_le_u32_e64 s29, vcc_hi, v9
	s_and_b32 s24, s37, s24
	v_sub_nc_u32_e32 v144, v144, v46
	s_and_b32 s18, s37, s18
	v_cndmask_b32_e64 v151, v177, v56, s24
	v_mul_hi_u32 v177, v11, s36
	v_and_b32_e32 v146, 0xff, v146
	v_cndmask_b32_e64 v147, v161, v40, s18
	v_mul_lo_u32 v56, vcc_hi, v176
	v_add_co_ci_u32_e64 v9, s29, 0, v165, s29
	v_cmp_le_u32_e64 s29, vcc_hi, v144
	v_sub_nc_u32_e32 v10, v10, v47
	v_cmp_ne_u32_e64 s26, 0, v178
	v_mul_hi_u32 v178, v146, s36
	v_and_b32_e32 v147, 0xff, v147
	v_mul_lo_u32 v57, vcc_hi, v177
	v_add_co_ci_u32_e64 v144, s29, 0, v166, s29
	v_sub_nc_u16 v58, 0, v180
	v_cmp_le_u32_e64 s29, vcc_hi, v10
	v_sub_nc_u32_e32 v145, v145, v56
	v_bfe_i32 v59, v181, 0, 8
	s_and_b32 s26, s37, s26
	v_mul_hi_u32 v179, v147, s36
	v_and_b32_e32 v148, 0xff, v148
	v_cndmask_b32_e64 v160, v180, v58, s26
	v_mul_lo_u32 v58, vcc_hi, v178
	v_add_co_ci_u32_e64 v10, s29, 0, v167, s29
	v_cmp_le_u32_e64 s29, vcc_hi, v145
	v_sub_nc_u32_e32 v11, v11, v57
	v_cmp_gt_i16_e64 s27, 0, v59
	v_mul_hi_u32 v180, v148, s36
	v_sub_nc_u16 v60, 0, v181
	v_and_b32_e32 v149, 0xff, v149
	v_mul_lo_u32 v59, vcc_hi, v179
	v_add_co_ci_u32_e64 v145, s29, 0, v176, s29
	v_cmp_le_u32_e64 s29, vcc_hi, v11
	s_and_b32 s27, s37, s27
	v_sub_nc_u32_e32 v146, v146, v58
	v_cndmask_b32_e64 v161, v181, v60, s27
	v_mul_hi_u32 v181, v149, s36
	v_and_b32_e32 v150, 0xff, v150
	v_mul_lo_u32 v60, vcc_hi, v180
	v_add_co_ci_u32_e64 v11, s29, 0, v177, s29
	v_cmp_le_u32_e64 s29, vcc_hi, v146
	v_sub_nc_u32_e32 v147, v147, v59
	v_mul_hi_u32 v182, v150, s36
	v_and_b32_e32 v151, 0xff, v151
	v_mul_lo_u32 v61, vcc_hi, v181
	v_add_co_ci_u32_e64 v146, s29, 0, v178, s29
	v_cmp_le_u32_e64 s29, vcc_hi, v147
	v_sub_nc_u32_e32 v148, v148, v60
	;; [unrolled: 6-line block ×4, first 2 shown]
	v_mul_hi_u32 v41, v161, s36
	v_mul_lo_u32 v72, vcc_hi, v40
	v_sub_nc_u32_e32 v162, 0, v134
	v_add_co_ci_u32_e64 v149, s29, 0, v181, s29
	v_cmp_le_u32_e64 s29, vcc_hi, v150
	v_sub_nc_u32_e32 v151, v151, v63
	s_delay_alu instid0(VALU_DEP_4)
	v_cndmask_b32_e32 v134, v134, v162, vcc_lo
	v_mul_lo_u32 v73, vcc_hi, v41
	v_sub_nc_u32_e32 v160, v160, v72
	v_add_co_ci_u32_e64 v150, s29, 0, v182, s29
	v_cmp_le_u32_e64 s29, vcc_hi, v151
	v_sub_nc_u32_e32 v163, 0, v8
	v_sub_nc_u32_e32 v164, 0, v135
	v_sub_nc_u32_e32 v165, 0, v9
	v_sub_nc_u32_e32 v161, v161, v73
	v_add_co_ci_u32_e64 v151, s29, 0, v183, s29
	v_cmp_le_u32_e64 s29, vcc_hi, v160
	v_sub_nc_u32_e32 v166, 0, v144
	v_sub_nc_u32_e32 v167, 0, v10
	;; [unrolled: 1-line block ×4, first 2 shown]
	v_add_co_ci_u32_e64 v160, s29, 0, v40, s29
	v_cmp_le_u32_e64 s29, vcc_hi, v161
	v_sub_nc_u32_e32 v178, 0, v147
	v_cndmask_b32_e64 v8, v163, v8, s19
	v_cndmask_b32_e64 v135, v135, v164, s14
	v_sub_nc_u32_e32 v163, 0, v148
	v_add_co_ci_u32_e64 v161, s29, 0, v41, s29
	v_sub_nc_u32_e32 v164, 0, v149
	v_cndmask_b32_e64 v9, v165, v9, s22
	v_cndmask_b32_e64 v144, v144, v166, s15
	v_sub_nc_u32_e32 v165, 0, v150
	v_sub_nc_u32_e32 v166, 0, v151
	v_cndmask_b32_e64 v10, v167, v10, s25
	v_cndmask_b32_e64 v145, v145, v176, s16
	v_sub_nc_u32_e32 v167, 0, v160
	v_sub_nc_u32_e32 v176, 0, v161
	;; [unrolled: 1-line block ×3, first 2 shown]
	v_cndmask_b32_e64 v146, v146, v162, s17
	v_cndmask_b32_e64 v147, v147, v178, s18
	;; [unrolled: 1-line block ×9, first 2 shown]
	v_lshlrev_b32_e32 v146, 8, v146
	v_and_b32_e32 v147, 0xff, v147
	v_lshlrev_b32_e32 v148, 8, v148
	v_and_b32_e32 v149, 0xff, v149
	;; [unrolled: 2-line block ×4, first 2 shown]
	v_lshlrev_b32_e32 v8, 24, v8
	v_lshlrev_b32_e32 v9, 24, v9
	;; [unrolled: 1-line block ×5, first 2 shown]
	v_perm_b32 v134, v146, v134, 0xc0c0500
	v_lshlrev_b32_e32 v146, 16, v149
	v_perm_b32 v135, v148, v135, 0xc0c0500
	v_lshlrev_b32_e32 v148, 16, v151
	;; [unrolled: 2-line block ×3, first 2 shown]
	v_perm_b32 v145, v160, v145, 0xc0c0500
	v_or3_b32 v8, v8, v147, v134
	v_or3_b32 v9, v9, v146, v135
	;; [unrolled: 1-line block ×3, first 2 shown]
	s_mov_b64 s[14:15], 0
	v_or3_b32 v11, v11, v149, v145
	s_mov_b32 s16, -1
.LBB2_653:                              ;   Parent Loop BB2_51 Depth=1
                                        ;     Parent Loop BB2_559 Depth=2
                                        ;       Parent Loop BB2_652 Depth=3
                                        ; =>      This Inner Loop Header: Depth=4
	s_cmp_eq_u32 s14, 0
	v_cndmask_b32_e64 v144, 0, 1, s16
	s_cselect_b32 vcc_lo, -1, 0
	s_cmp_eq_u32 s14, 1
	s_mov_b32 s16, 0
	s_cselect_b32 s14, -1, 0
	s_delay_alu instid0(SALU_CYCLE_1) | instskip(SKIP_1) | instid1(VALU_DEP_2)
	v_cndmask_b32_e64 v134, v52, v54, s14
	v_cndmask_b32_e64 v135, v53, v55, s14
	v_add_co_u32 v145, s15, 0x200, v134
	s_delay_alu instid0(VALU_DEP_1) | instskip(SKIP_1) | instid1(VALU_DEP_3)
	v_add_co_ci_u32_e64 v146, s15, 0, v135, s15
	v_cmp_ne_u32_e64 s15, 1, v144
	v_cndmask_b32_e64 v54, v54, v145, s14
	v_cndmask_b32_e32 v52, v52, v145, vcc_lo
	s_delay_alu instid0(VALU_DEP_4)
	v_cndmask_b32_e64 v55, v55, v146, s14
	v_cndmask_b32_e32 v53, v53, v146, vcc_lo
	s_and_b32 vcc_lo, exec_lo, s15
	s_mov_b64 s[14:15], 1
	global_store_b128 v[134:135], v[8:11], off glc slc dlc
	s_cbranch_vccz .LBB2_653
; %bb.654:                              ;   in Loop: Header=BB2_652 Depth=3
	v_add_co_u32 v64, vcc_lo, v64, v96
	v_add_co_ci_u32_e32 v65, vcc_lo, v65, v97, vcc_lo
	v_add_co_u32 v66, vcc_lo, v66, v96
	v_sub_nc_u32_e32 v131, v131, v82
	v_add_co_ci_u32_e32 v67, vcc_lo, v67, v97, vcc_lo
	v_add_co_u32 v52, vcc_lo, v52, v83
	v_add_co_ci_u32_e32 v53, vcc_lo, v53, v86, vcc_lo
	s_delay_alu instid0(VALU_DEP_4) | instskip(SKIP_1) | instid1(VALU_DEP_1)
	v_cmp_gt_i32_e32 vcc_lo, 16, v131
	v_add_co_u32 v54, s14, v54, v83
	v_add_co_ci_u32_e64 v55, s14, v55, v86, s14
	v_sub_nc_u32_e32 v133, v133, v71
	s_or_b32 s35, vcc_lo, s35
	s_delay_alu instid0(SALU_CYCLE_1)
	s_and_not1_b32 exec_lo, exec_lo, s35
	s_cbranch_execnz .LBB2_652
; %bb.655:                              ;   in Loop: Header=BB2_559 Depth=2
	s_or_b32 exec_lo, exec_lo, s35
.LBB2_656:                              ;   in Loop: Header=BB2_559 Depth=2
	s_delay_alu instid0(SALU_CYCLE_1) | instskip(SKIP_2) | instid1(VALU_DEP_1)
	s_or_b32 exec_lo, exec_lo, s34
	v_and_b32_e32 v9, 15, v130
	s_mov_b32 s34, exec_lo
                                        ; implicit-def: $vgpr65
                                        ; implicit-def: $vgpr64
                                        ; implicit-def: $vgpr66
                                        ; implicit-def: $vgpr8
	v_cndmask_b32_e64 v131, v132, v9, s13
	s_delay_alu instid0(VALU_DEP_1)
	v_cmpx_ne_u32_e32 0, v131
	s_cbranch_execz .LBB2_667
; %bb.657:                              ;   in Loop: Header=BB2_559 Depth=2
	v_cmp_lt_i32_e32 vcc_lo, 0, v133
	v_ashrrev_i32_e32 v11, 31, v131
	v_sub_nc_u32_e32 v9, v132, v9
	s_mov_b32 s35, exec_lo
	v_cndmask_b32_e32 v8, 0, v71, vcc_lo
	s_delay_alu instid0(VALU_DEP_3) | instskip(NEXT) | instid1(VALU_DEP_3)
	v_lshrrev_b32_e32 v11, 23, v11
	v_cndmask_b32_e64 v9, 0, v9, s13
	s_delay_alu instid0(VALU_DEP_3) | instskip(NEXT) | instid1(VALU_DEP_3)
	v_sub_nc_u32_e32 v8, v8, v133
	v_add_nc_u32_e32 v11, v131, v11
	s_delay_alu instid0(VALU_DEP_3) | instskip(NEXT) | instid1(VALU_DEP_3)
	v_add_nc_u32_e32 v2, v9, v2
	v_lshl_add_u32 v8, v8, 5, v81
	s_delay_alu instid0(VALU_DEP_3) | instskip(SKIP_1) | instid1(VALU_DEP_3)
	v_and_b32_e32 v133, 0xfffffe00, v11
	v_ashrrev_i32_e32 v11, 9, v11
	v_ashrrev_i32_e32 v10, 31, v8
	s_delay_alu instid0(VALU_DEP_3) | instskip(NEXT) | instid1(VALU_DEP_2)
	v_sub_nc_u32_e32 v132, v131, v133
	v_lshrrev_b32_e32 v10, 27, v10
	s_delay_alu instid0(VALU_DEP_2) | instskip(NEXT) | instid1(VALU_DEP_2)
	v_cmp_lt_i32_e64 s13, 15, v132
	v_add_nc_u32_e32 v10, v8, v10
	s_delay_alu instid0(VALU_DEP_2) | instskip(NEXT) | instid1(VALU_DEP_2)
	v_add_co_ci_u32_e64 v11, vcc_lo, 0, v11, s13
	v_and_b32_e32 v52, 0xffffffe0, v10
	v_ashrrev_i32_e32 v10, 5, v10
	s_delay_alu instid0(VALU_DEP_2) | instskip(NEXT) | instid1(VALU_DEP_2)
	v_sub_nc_u32_e32 v134, v8, v52
	v_sub_nc_u32_e32 v135, v11, v10
	s_delay_alu instid0(VALU_DEP_2) | instskip(NEXT) | instid1(VALU_DEP_1)
	v_lshlrev_b32_e32 v8, 4, v134
	v_lshl_add_u32 v8, v10, 9, v8
	s_delay_alu instid0(VALU_DEP_1) | instskip(NEXT) | instid1(VALU_DEP_1)
	v_sub_nc_u32_e32 v144, v131, v8
	v_cmpx_lt_i32_e32 15, v144
	s_cbranch_execz .LBB2_664
; %bb.658:                              ;   in Loop: Header=BB2_559 Depth=2
	v_cvt_f32_u32_e32 v9, vcc_hi
	s_sub_i32 s15, 0, vcc_hi
	s_mov_b32 s36, 0
	s_delay_alu instid0(VALU_DEP_1) | instskip(SKIP_2) | instid1(VALU_DEP_1)
	v_rcp_iflag_f32_e32 v9, v9
	s_waitcnt_depctr 0xfff
	v_mul_f32_e32 v9, 0x4f7ffffe, v9
	v_cvt_u32_f32_e32 v9, v9
	s_delay_alu instid0(VALU_DEP_1) | instskip(NEXT) | instid1(VALU_DEP_1)
	v_readfirstlane_b32 s14, v9
	s_mul_i32 s15, s15, s14
	s_delay_alu instid0(SALU_CYCLE_1) | instskip(NEXT) | instid1(SALU_CYCLE_1)
	s_mul_hi_u32 s15, s14, s15
	s_add_i32 s14, s14, s15
	s_delay_alu instid0(SALU_CYCLE_1) | instskip(NEXT) | instid1(SALU_CYCLE_1)
	s_mul_hi_u32 s14, s14, -1
	s_mul_i32 s15, s14, vcc_hi
	s_add_i32 s16, s14, 1
	s_not_b32 s15, s15
	s_delay_alu instid0(SALU_CYCLE_1)
	s_sub_i32 s17, s15, vcc_hi
	s_cmp_ge_u32 s15, vcc_hi
	s_cselect_b32 s14, s16, s14
	s_cselect_b32 s15, s17, s15
	s_add_i32 s16, s14, 1
	s_cmp_ge_u32 s15, vcc_hi
	s_cselect_b32 s37, s16, s14
	s_cbranch_execnz .LBB2_1812
; %bb.659:                              ;   in Loop: Header=BB2_559 Depth=2
	ds_load_b128 v[52:55], v0
	v_add_nc_u32_e32 v8, v8, v2
	s_cmp_lt_i32 s30, 0
	s_cselect_b32 s38, -1, 0
	s_delay_alu instid0(VALU_DEP_1) | instskip(SKIP_2) | instid1(VALU_DEP_2)
	v_ashrrev_i32_e32 v9, 31, v8
	s_waitcnt lgkmcnt(0)
	v_add_co_u32 v52, vcc_lo, v52, v8
	v_add_co_ci_u32_e32 v53, vcc_lo, v53, v9, vcc_lo
	s_delay_alu instid0(VALU_DEP_1) | instskip(SKIP_2) | instid1(VALU_DEP_1)
	v_mov_b32_e32 v65, v53
	v_add_co_u32 v54, vcc_lo, v54, v8
	v_add_co_ci_u32_e32 v55, vcc_lo, v55, v9, vcc_lo
	v_dual_mov_b32 v64, v52 :: v_dual_mov_b32 v67, v55
	s_delay_alu instid0(VALU_DEP_3)
	v_mov_b32_e32 v66, v54
.LBB2_660:                              ;   Parent Loop BB2_51 Depth=1
                                        ;     Parent Loop BB2_559 Depth=2
                                        ; =>    This Loop Header: Depth=3
                                        ;         Child Loop BB2_661 Depth 4
	global_load_b128 v[8:11], v[64:65], off slc dlc
	global_load_b128 v[145:148], v[66:67], off slc dlc
	s_waitcnt vmcnt(1)
	v_and_b32_e32 v149, 0xff00ff, v8
	s_waitcnt vmcnt(0)
	v_and_b32_e32 v150, 0xff00ff, v145
	v_and_b32_e32 v8, 0xff00ff00, v8
	;; [unrolled: 1-line block ×9, first 2 shown]
	v_add_co_u32 v149, null, v150, v149
	v_and_b32_e32 v163, 0xff00ff, v11
	v_and_b32_e32 v164, 0xff00ff, v148
	;; [unrolled: 1-line block ×4, first 2 shown]
	v_add_nc_u32_e32 v8, v145, v8
	v_add_nc_u32_e32 v9, v146, v9
	v_add_co_u32 v146, null, v162, v161
	v_bfe_i32 v161, v149, 0, 8
	v_and_b32_e32 v10, 0xff00ff00, v10
	v_and_b32_e32 v147, 0xff00ff00, v147
	v_add_nc_u32_e32 v11, v148, v11
	v_perm_b32 v148, v8, v149, 0x7020500
	v_cmp_gt_i16_e64 vcc_lo, 0, v161
	v_add_co_u32 v145, null, v160, v151
	v_sub_nc_u16 v162, 0, v149
	v_add_nc_u32_e32 v10, v147, v10
	v_add_co_u32 v147, null, v164, v163
	v_lshrrev_b32_e32 v163, 8, v8
	v_lshrrev_b32_e32 v8, 24, v8
	v_and_b32_e32 v161, 0x8000, v148
	v_and_b32_e32 v148, s30, v148
	s_and_b32 vcc_lo, s38, vcc_lo
	v_perm_b32 v150, v9, v145, 0x7020500
	v_lshrrev_b32_e32 v164, 16, v149
	v_cndmask_b32_e32 v149, v149, v162, vcc_lo
	v_bfe_i32 v165, v145, 0, 8
	v_sub_nc_u16 v44, 0, v8
	v_cmp_lt_i32_e64 s19, -1, v148
	v_sub_nc_u16 v166, 0, v145
	v_and_b32_e32 v148, 0xff, v149
	v_cmp_gt_i16_e64 s14, 0, v165
	v_and_b32_e32 v165, 0x8000, v150
	v_cndmask_b32_e64 v8, v44, v8, s19
	v_perm_b32 v151, v10, v146, 0x7020500
	v_lshrrev_b32_e32 v167, 8, v9
	v_lshrrev_b32_e32 v9, 24, v9
	v_bfe_i32 v177, v146, 0, 8
	v_and_b32_e32 v150, s30, v150
	s_and_b32 s14, s38, s14
	v_cmp_ne_u32_e64 s20, 0, v165
	v_mul_hi_u32 v165, v148, s37
	v_lshrrev_b32_e32 v176, 16, v145
	v_and_b32_e32 v8, 0xff, v8
	v_cndmask_b32_e64 v145, v145, v166, s14
	v_sub_nc_u16 v45, 0, v167
	v_sub_nc_u16 v56, 0, v9
	v_cmp_gt_i16_e64 s15, 0, v177
	v_and_b32_e32 v177, 0x8000, v151
	v_and_b32_e32 v151, s30, v151
	v_cmp_lt_i32_e64 s22, -1, v150
	v_bfe_i32 v46, v176, 0, 8
	s_and_b32 s20, s38, s20
	v_mul_hi_u32 v166, v8, s37
	v_and_b32_e32 v145, 0xff, v145
	v_perm_b32 v160, v11, v147, 0x7020500
	v_bfe_i32 v181, v147, 0, 8
	v_cndmask_b32_e64 v9, v56, v9, s22
	v_cmp_lt_i32_e64 s25, -1, v151
	v_cndmask_b32_e64 v151, v167, v45, s20
	v_mul_lo_u32 v45, vcc_hi, v165
	v_sub_nc_u16 v178, 0, v146
	v_lshrrev_b32_e32 v179, 8, v10
	v_lshrrev_b32_e32 v10, 24, v10
	v_cmp_gt_i16_e64 s21, 0, v46
	s_and_b32 s15, s38, s15
	v_mul_hi_u32 v167, v145, s37
	v_sub_nc_u16 v47, 0, v176
	v_cmp_gt_i16_e64 s16, 0, v181
	v_and_b32_e32 v181, 0x8000, v160
	v_and_b32_e32 v160, s30, v160
	;; [unrolled: 1-line block ×3, first 2 shown]
	v_lshrrev_b32_e32 v180, 16, v146
	v_cndmask_b32_e64 v146, v146, v178, s15
	v_mul_lo_u32 v46, vcc_hi, v166
	v_sub_nc_u16 v60, 0, v10
	s_and_b32 s21, s38, s21
	v_sub_nc_u32_e32 v148, v148, v45
	v_cmp_lt_i32_e64 s28, -1, v160
	v_cndmask_b32_e64 v160, v176, v47, s21
	v_mul_hi_u32 v176, v9, s37
	v_and_b32_e32 v146, 0xff, v146
	v_cndmask_b32_e64 v10, v60, v10, s25
	v_mul_lo_u32 v47, vcc_hi, v167
	v_sub_nc_u16 v182, 0, v147
	v_cmp_le_u32_e64 s29, vcc_hi, v148
	v_lshrrev_b32_e32 v183, 8, v11
	v_lshrrev_b32_e32 v11, 24, v11
	v_sub_nc_u32_e32 v8, v8, v46
	v_cmp_ne_u32_e64 s23, 0, v177
	s_and_b32 s16, s38, s16
	v_mul_hi_u32 v177, v146, s37
	v_and_b32_e32 v10, 0xff, v10
	v_lshrrev_b32_e32 v40, 16, v147
	v_cndmask_b32_e64 v147, v147, v182, s16
	v_mul_lo_u32 v56, vcc_hi, v176
	v_add_co_ci_u32_e64 v148, s29, 0, v165, s29
	v_sub_nc_u16 v57, 0, v179
	v_sub_nc_u16 v72, 0, v11
	v_cmp_le_u32_e64 s29, vcc_hi, v8
	v_sub_nc_u32_e32 v145, v145, v47
	v_bfe_i32 v58, v180, 0, 8
	s_and_b32 s23, s38, s23
	v_mul_hi_u32 v178, v10, s37
	v_cmp_ne_u32_e64 s17, 0, v161
	v_and_b32_e32 v147, 0xff, v147
	v_bfe_i32 v42, v164, 0, 8
	v_cndmask_b32_e64 v11, v72, v11, s28
	v_cndmask_b32_e64 v161, v179, v57, s23
	v_mul_lo_u32 v57, vcc_hi, v177
	v_add_co_ci_u32_e64 v8, s29, 0, v166, s29
	v_sub_nc_u16 v41, 0, v163
	v_cmp_le_u32_e64 s29, vcc_hi, v145
	v_sub_nc_u32_e32 v9, v9, v56
	v_cmp_gt_i16_e64 s24, 0, v58
	s_and_b32 s17, s38, s17
	v_mul_hi_u32 v179, v147, s37
	v_sub_nc_u16 v59, 0, v180
	v_cmp_gt_i16_e64 s18, 0, v42
	v_and_b32_e32 v11, 0xff, v11
	v_cndmask_b32_e64 v149, v163, v41, s17
	v_mul_lo_u32 v58, vcc_hi, v178
	v_add_co_ci_u32_e64 v145, s29, 0, v167, s29
	v_sub_nc_u16 v43, 0, v164
	v_cmp_le_u32_e64 s29, vcc_hi, v9
	s_and_b32 s24, s38, s24
	v_sub_nc_u32_e32 v146, v146, v57
	s_and_b32 s18, s38, s18
	v_cndmask_b32_e64 v162, v180, v59, s24
	v_mul_hi_u32 v180, v11, s37
	v_and_b32_e32 v149, 0xff, v149
	v_cndmask_b32_e64 v150, v164, v43, s18
	v_mul_lo_u32 v59, vcc_hi, v179
	v_add_co_ci_u32_e64 v9, s29, 0, v176, s29
	v_cmp_le_u32_e64 s29, vcc_hi, v146
	v_sub_nc_u32_e32 v10, v10, v58
	v_cmp_ne_u32_e64 s26, 0, v181
	v_mul_hi_u32 v181, v149, s37
	v_and_b32_e32 v150, 0xff, v150
	v_mul_lo_u32 v60, vcc_hi, v180
	v_add_co_ci_u32_e64 v146, s29, 0, v177, s29
	v_sub_nc_u16 v61, 0, v183
	v_cmp_le_u32_e64 s29, vcc_hi, v10
	v_sub_nc_u32_e32 v147, v147, v59
	v_bfe_i32 v62, v40, 0, 8
	s_and_b32 s26, s38, s26
	v_mul_hi_u32 v182, v150, s37
	v_and_b32_e32 v151, 0xff, v151
	v_cndmask_b32_e64 v163, v183, v61, s26
	v_mul_lo_u32 v61, vcc_hi, v181
	v_add_co_ci_u32_e64 v10, s29, 0, v178, s29
	v_cmp_le_u32_e64 s29, vcc_hi, v147
	v_sub_nc_u32_e32 v11, v11, v60
	v_cmp_gt_i16_e64 s27, 0, v62
	v_mul_hi_u32 v183, v151, s37
	v_sub_nc_u16 v63, 0, v40
	v_and_b32_e32 v160, 0xff, v160
	v_mul_lo_u32 v62, vcc_hi, v182
	v_add_co_ci_u32_e64 v147, s29, 0, v179, s29
	v_cmp_le_u32_e64 s29, vcc_hi, v11
	s_and_b32 s27, s38, s27
	v_sub_nc_u32_e32 v149, v149, v61
	v_cndmask_b32_e64 v164, v40, v63, s27
	v_mul_hi_u32 v40, v160, s37
	v_and_b32_e32 v161, 0xff, v161
	v_mul_lo_u32 v63, vcc_hi, v183
	v_add_co_ci_u32_e64 v11, s29, 0, v180, s29
	v_cmp_le_u32_e64 s29, vcc_hi, v149
	v_sub_nc_u32_e32 v150, v150, v62
	v_mul_hi_u32 v41, v161, s37
	v_and_b32_e32 v162, 0xff, v162
	v_mul_lo_u32 v72, vcc_hi, v40
	v_add_co_ci_u32_e64 v149, s29, 0, v181, s29
	v_cmp_le_u32_e64 s29, vcc_hi, v150
	v_sub_nc_u32_e32 v151, v151, v63
	;; [unrolled: 6-line block ×4, first 2 shown]
	v_mul_hi_u32 v44, v164, s37
	v_mul_lo_u32 v75, vcc_hi, v43
	v_sub_nc_u32_e32 v165, 0, v148
	v_add_co_ci_u32_e64 v160, s29, 0, v40, s29
	v_cmp_le_u32_e64 s29, vcc_hi, v161
	v_sub_nc_u32_e32 v162, v162, v74
	v_sub_nc_u32_e32 v166, 0, v8
	v_mul_lo_u32 v76, vcc_hi, v44
	v_sub_nc_u32_e32 v163, v163, v75
	v_add_co_ci_u32_e64 v161, s29, 0, v41, s29
	v_cmp_le_u32_e64 s29, vcc_hi, v162
	v_sub_nc_u32_e32 v167, 0, v145
	v_sub_nc_u32_e32 v176, 0, v9
	;; [unrolled: 1-line block ×4, first 2 shown]
	v_add_co_ci_u32_e64 v162, s29, 0, v42, s29
	v_cmp_le_u32_e64 s29, vcc_hi, v163
	v_sub_nc_u32_e32 v178, 0, v10
	v_sub_nc_u32_e32 v179, 0, v147
	v_cndmask_b32_e32 v148, v148, v165, vcc_lo
	v_sub_nc_u32_e32 v165, 0, v149
	v_add_co_ci_u32_e64 v163, s29, 0, v43, s29
	v_cmp_le_u32_e64 s29, vcc_hi, v164
	v_sub_nc_u32_e32 v181, 0, v150
	v_cndmask_b32_e64 v8, v166, v8, s19
	v_cndmask_b32_e64 v145, v145, v167, s14
	v_sub_nc_u32_e32 v166, 0, v151
	v_add_co_ci_u32_e64 v164, s29, 0, v44, s29
	v_sub_nc_u32_e32 v167, 0, v160
	v_cndmask_b32_e64 v9, v176, v9, s22
	v_cndmask_b32_e64 v146, v146, v177, s15
	v_sub_nc_u32_e32 v176, 0, v161
	v_sub_nc_u32_e32 v177, 0, v162
	v_cndmask_b32_e64 v10, v178, v10, s25
	v_cndmask_b32_e64 v147, v147, v179, s16
	v_sub_nc_u32_e32 v178, 0, v163
	v_sub_nc_u32_e32 v179, 0, v164
	v_sub_nc_u32_e32 v180, 0, v11
	v_cndmask_b32_e64 v149, v149, v165, s17
	v_cndmask_b32_e64 v150, v150, v181, s18
	;; [unrolled: 1-line block ×9, first 2 shown]
	v_lshlrev_b32_e32 v149, 8, v149
	v_and_b32_e32 v150, 0xff, v150
	v_lshlrev_b32_e32 v151, 8, v151
	v_and_b32_e32 v160, 0xff, v160
	;; [unrolled: 2-line block ×4, first 2 shown]
	v_lshlrev_b32_e32 v8, 24, v8
	v_lshlrev_b32_e32 v9, 24, v9
	;; [unrolled: 1-line block ×5, first 2 shown]
	v_perm_b32 v148, v149, v148, 0xc0c0500
	v_lshlrev_b32_e32 v149, 16, v160
	v_perm_b32 v145, v151, v145, 0xc0c0500
	v_lshlrev_b32_e32 v151, 16, v162
	;; [unrolled: 2-line block ×3, first 2 shown]
	v_perm_b32 v147, v163, v147, 0xc0c0500
	v_or3_b32 v8, v8, v150, v148
	v_or3_b32 v9, v9, v149, v145
	;; [unrolled: 1-line block ×3, first 2 shown]
	s_mov_b64 s[14:15], 0
	v_or3_b32 v11, v11, v160, v147
	s_mov_b32 s16, -1
.LBB2_661:                              ;   Parent Loop BB2_51 Depth=1
                                        ;     Parent Loop BB2_559 Depth=2
                                        ;       Parent Loop BB2_660 Depth=3
                                        ; =>      This Inner Loop Header: Depth=4
	s_cmp_eq_u32 s14, 0
	v_cndmask_b32_e64 v147, 0, 1, s16
	s_cselect_b32 vcc_lo, -1, 0
	s_cmp_eq_u32 s14, 1
	s_mov_b32 s16, 0
	s_cselect_b32 s14, -1, 0
	s_delay_alu instid0(SALU_CYCLE_1) | instskip(SKIP_1) | instid1(VALU_DEP_2)
	v_cndmask_b32_e64 v145, v52, v54, s14
	v_cndmask_b32_e64 v146, v53, v55, s14
	v_add_co_u32 v148, s15, 0x200, v145
	s_delay_alu instid0(VALU_DEP_1) | instskip(SKIP_1) | instid1(VALU_DEP_3)
	v_add_co_ci_u32_e64 v149, s15, 0, v146, s15
	v_cmp_ne_u32_e64 s15, 1, v147
	v_cndmask_b32_e64 v54, v54, v148, s14
	v_cndmask_b32_e32 v52, v52, v148, vcc_lo
	s_delay_alu instid0(VALU_DEP_4)
	v_cndmask_b32_e64 v55, v55, v149, s14
	v_cndmask_b32_e32 v53, v53, v149, vcc_lo
	s_and_b32 vcc_lo, exec_lo, s15
	s_mov_b64 s[14:15], 1
	global_store_b128 v[145:146], v[8:11], off glc slc dlc
	s_cbranch_vccz .LBB2_661
; %bb.662:                              ;   in Loop: Header=BB2_660 Depth=3
	v_add_co_u32 v64, vcc_lo, v64, v96
	v_add_co_ci_u32_e32 v65, vcc_lo, v65, v97, vcc_lo
	v_add_co_u32 v66, vcc_lo, v66, v96
	v_sub_nc_u32_e32 v144, v144, v82
	v_add_co_ci_u32_e32 v67, vcc_lo, v67, v97, vcc_lo
	v_add_co_u32 v52, vcc_lo, v52, v83
	v_add_co_ci_u32_e32 v53, vcc_lo, v53, v86, vcc_lo
	s_delay_alu instid0(VALU_DEP_4) | instskip(SKIP_1) | instid1(VALU_DEP_1)
	v_cmp_gt_i32_e32 vcc_lo, 16, v144
	v_add_co_u32 v54, s14, v54, v83
	v_add_co_ci_u32_e64 v55, s14, v55, v86, s14
	v_sub_nc_u32_e32 v135, v135, v71
	s_or_b32 s36, vcc_lo, s36
	s_delay_alu instid0(SALU_CYCLE_1)
	s_and_not1_b32 exec_lo, exec_lo, s36
	s_cbranch_execnz .LBB2_660
; %bb.663:                              ;   in Loop: Header=BB2_559 Depth=2
	s_or_b32 exec_lo, exec_lo, s36
.LBB2_664:                              ;   in Loop: Header=BB2_559 Depth=2
	s_delay_alu instid0(SALU_CYCLE_1) | instskip(SKIP_3) | instid1(VALU_DEP_1)
	s_or_b32 exec_lo, exec_lo, s35
	v_and_b32_e32 v9, 15, v131
	s_mov_b32 s14, s31
	s_mov_b32 s15, exec_lo
                                        ; implicit-def: $vgpr64
                                        ; implicit-def: $vgpr66
                                        ; implicit-def: $vgpr8
	v_cndmask_b32_e64 v65, v132, v9, s13
	s_delay_alu instid0(VALU_DEP_1)
	v_cmpx_ne_u32_e32 0, v65
	s_cbranch_execz .LBB2_666
; %bb.665:                              ;   in Loop: Header=BB2_559 Depth=2
	v_cmp_lt_i32_e32 vcc_lo, 0, v135
	v_sub_nc_u32_e32 v9, v132, v9
	s_or_b32 s14, s31, exec_lo
	v_cndmask_b32_e32 v8, 0, v71, vcc_lo
	s_delay_alu instid0(VALU_DEP_2) | instskip(NEXT) | instid1(VALU_DEP_2)
	v_cndmask_b32_e64 v9, 0, v9, s13
	v_sub_nc_u32_e32 v8, v8, v135
	s_delay_alu instid0(VALU_DEP_2) | instskip(NEXT) | instid1(VALU_DEP_2)
	v_add3_u32 v64, v133, v2, v9
	v_lshl_add_u32 v66, v8, 5, v134
	s_delay_alu instid0(VALU_DEP_1) | instskip(NEXT) | instid1(VALU_DEP_1)
	v_ashrrev_i32_e32 v8, 31, v66
	v_lshrrev_b32_e32 v8, 27, v8
	s_delay_alu instid0(VALU_DEP_1) | instskip(NEXT) | instid1(VALU_DEP_1)
	v_add_nc_u32_e32 v8, v66, v8
	v_ashrrev_i32_e32 v8, 5, v8
.LBB2_666:                              ;   in Loop: Header=BB2_559 Depth=2
	s_or_b32 exec_lo, exec_lo, s15
	s_delay_alu instid0(SALU_CYCLE_1) | instskip(SKIP_1) | instid1(SALU_CYCLE_1)
	s_and_not1_b32 s13, s31, exec_lo
	s_and_b32 s14, s14, exec_lo
	s_or_b32 s31, s13, s14
.LBB2_667:                              ;   in Loop: Header=BB2_559 Depth=2
	s_or_b32 exec_lo, exec_lo, s34
	s_branch .LBB2_669
.LBB2_668:                              ;   in Loop: Header=BB2_559 Depth=2
	v_dual_mov_b32 v64, s14 :: v_dual_mov_b32 v65, v130
	v_mov_b32_e32 v66, v0
	v_mov_b32_e32 v8, v80
.LBB2_669:                              ;   in Loop: Header=BB2_559 Depth=2
	s_and_saveexec_b32 s22, s31
	s_cbranch_execz .LBB2_683
; %bb.670:                              ;   in Loop: Header=BB2_559 Depth=2
	v_ashrrev_i32_e32 v2, 31, v65
	s_mov_b32 s23, exec_lo
	s_delay_alu instid0(VALU_DEP_1) | instskip(NEXT) | instid1(VALU_DEP_1)
	v_lshrrev_b32_e32 v2, 24, v2
	v_add_nc_u32_e32 v2, v65, v2
	s_delay_alu instid0(VALU_DEP_1) | instskip(NEXT) | instid1(VALU_DEP_1)
	v_ashrrev_i32_e32 v67, 8, v2
	v_sub_nc_u32_e32 v2, v67, v8
	s_delay_alu instid0(VALU_DEP_1)
	v_cmpx_lt_i32_e32 0, v2
	s_cbranch_execz .LBB2_675
; %bb.671:                              ;   in Loop: Header=BB2_559 Depth=2
	v_cvt_f32_u32_e32 v9, vcc_hi
	s_sub_i32 s14, 0, vcc_hi
	s_mov_b32 s24, 0
	s_delay_alu instid0(VALU_DEP_1) | instskip(SKIP_2) | instid1(VALU_DEP_1)
	v_rcp_iflag_f32_e32 v9, v9
	s_waitcnt_depctr 0xfff
	v_mul_f32_e32 v9, 0x4f7ffffe, v9
	v_cvt_u32_f32_e32 v9, v9
	s_delay_alu instid0(VALU_DEP_1) | instskip(NEXT) | instid1(VALU_DEP_1)
	v_readfirstlane_b32 s13, v9
	s_mul_i32 s14, s14, s13
	s_delay_alu instid0(SALU_CYCLE_1) | instskip(NEXT) | instid1(SALU_CYCLE_1)
	s_mul_hi_u32 s14, s13, s14
	s_add_i32 s13, s13, s14
	s_delay_alu instid0(SALU_CYCLE_1) | instskip(NEXT) | instid1(SALU_CYCLE_1)
	s_mul_hi_u32 s13, s13, -1
	s_mul_i32 s14, s13, vcc_hi
	s_add_i32 s15, s13, 1
	s_not_b32 s14, s14
	s_delay_alu instid0(SALU_CYCLE_1)
	s_sub_i32 s16, s14, vcc_hi
	s_cmp_ge_u32 s14, vcc_hi
	s_cselect_b32 s13, s15, s13
	s_cselect_b32 s14, s16, s14
	s_add_i32 s15, s13, 1
	s_cmp_ge_u32 s14, vcc_hi
	s_cselect_b32 s25, s15, s13
	s_cbranch_execnz .LBB2_1764
; %bb.672:                              ;   in Loop: Header=BB2_559 Depth=2
	v_ashrrev_i32_e32 v9, 31, v66
	ds_load_b128 v[52:55], v0
	v_lshlrev_b32_e32 v8, 8, v8
	s_cmp_lt_i32 s30, 0
	s_cselect_b32 s26, -1, 0
	v_lshrrev_b32_e32 v9, 27, v9
	s_delay_alu instid0(VALU_DEP_1) | instskip(NEXT) | instid1(VALU_DEP_1)
	v_add_nc_u32_e32 v9, v66, v9
	v_and_b32_e32 v9, 0xffffffe0, v9
	s_delay_alu instid0(VALU_DEP_1) | instskip(NEXT) | instid1(VALU_DEP_1)
	v_sub_nc_u32_e32 v9, v66, v9
	v_add3_u32 v10, v64, v9, v8
	s_delay_alu instid0(VALU_DEP_1) | instskip(SKIP_2) | instid1(VALU_DEP_2)
	v_ashrrev_i32_e32 v11, 31, v10
	s_waitcnt lgkmcnt(0)
	v_add_co_u32 v8, vcc_lo, v52, v10
	v_add_co_ci_u32_e32 v9, vcc_lo, v53, v11, vcc_lo
	v_add_co_u32 v10, vcc_lo, v54, v10
	v_add_co_ci_u32_e32 v11, vcc_lo, v55, v11, vcc_lo
	s_delay_alu instid0(VALU_DEP_3) | instskip(NEXT) | instid1(VALU_DEP_2)
	v_dual_mov_b32 v53, v9 :: v_dual_mov_b32 v52, v8
	v_dual_mov_b32 v55, v11 :: v_dual_mov_b32 v54, v10
.LBB2_673:                              ;   Parent Loop BB2_51 Depth=1
                                        ;     Parent Loop BB2_559 Depth=2
                                        ; =>    This Inner Loop Header: Depth=3
	s_clause 0x7
	flat_load_u8 v131, v[8:9] slc dlc
	flat_load_u8 v132, v[8:9] offset:32 slc dlc
	flat_load_u8 v133, v[8:9] offset:64 slc dlc
	;; [unrolled: 1-line block ×7, first 2 shown]
	s_clause 0x7
	flat_load_u8 v147, v[10:11] slc dlc
	flat_load_u8 v148, v[10:11] offset:32 slc dlc
	flat_load_u8 v149, v[10:11] offset:64 slc dlc
	;; [unrolled: 1-line block ×7, first 2 shown]
	v_add_co_u32 v8, vcc_lo, v8, v99
	v_sub_nc_u32_e32 v2, v2, v71
	v_add_co_ci_u32_e32 v9, vcc_lo, v9, v100, vcc_lo
	v_add_co_u32 v10, vcc_lo, v10, v99
	v_add_co_ci_u32_e32 v11, vcc_lo, v11, v100, vcc_lo
	s_delay_alu instid0(VALU_DEP_4)
	v_cmp_gt_i32_e32 vcc_lo, 1, v2
	s_waitcnt vmcnt(7) lgkmcnt(7)
	v_add_nc_u16 v131, v147, v131
	s_waitcnt vmcnt(6) lgkmcnt(6)
	v_add_nc_u16 v132, v148, v132
	;; [unrolled: 2-line block ×5, first 2 shown]
	v_bfe_i32 v147, v131, 0, 8
	v_bfe_i32 v148, v132, 0, 8
	v_sub_nc_u16 v163, 0, v131
	v_bfe_i32 v149, v133, 0, 8
	v_sub_nc_u16 v164, 0, v132
	v_cmp_gt_i16_e64 s13, 0, v147
	v_cmp_gt_i16_e64 s14, 0, v148
	v_bfe_i32 v150, v134, 0, 8
	v_cmp_gt_i16_e64 s15, 0, v149
	v_sub_nc_u16 v165, 0, v133
	s_and_b32 s13, s26, s13
	s_and_b32 s14, s26, s14
	v_cndmask_b32_e64 v131, v131, v163, s13
	v_cndmask_b32_e64 v132, v132, v164, s14
	s_and_b32 s15, s26, s15
	v_cmp_gt_i16_e64 s16, 0, v150
	v_bfe_i32 v151, v135, 0, 8
	v_and_b32_e32 v131, 0xff, v131
	v_and_b32_e32 v132, 0xff, v132
	v_cndmask_b32_e64 v133, v133, v165, s15
	s_waitcnt vmcnt(2) lgkmcnt(2)
	v_add_nc_u16 v144, v160, v144
	v_sub_nc_u16 v166, 0, v134
	v_mul_hi_u32 v147, v131, s25
	s_and_b32 s16, s26, s16
	v_mul_hi_u32 v148, v132, s25
	v_cmp_gt_i16_e64 s17, 0, v151
	v_and_b32_e32 v133, 0xff, v133
	v_bfe_i32 v160, v144, 0, 8
	v_cndmask_b32_e64 v134, v134, v166, s16
	s_waitcnt vmcnt(1) lgkmcnt(1)
	v_add_nc_u16 v145, v161, v145
	v_mul_lo_u32 v163, vcc_hi, v147
	v_sub_nc_u16 v167, 0, v135
	s_and_b32 s17, s26, s17
	v_mul_hi_u32 v149, v133, s25
	v_cmp_gt_i16_e64 s18, 0, v160
	v_and_b32_e32 v134, 0xff, v134
	v_bfe_i32 v161, v145, 0, 8
	v_cndmask_b32_e64 v135, v135, v167, s17
	v_mul_lo_u32 v164, vcc_hi, v148
	s_waitcnt vmcnt(0) lgkmcnt(0)
	v_add_nc_u16 v146, v162, v146
	v_sub_nc_u16 v176, 0, v144
	v_sub_nc_u32_e32 v131, v131, v163
	s_and_b32 s18, s26, s18
	v_mul_hi_u32 v150, v134, s25
	v_cmp_gt_i16_e64 s19, 0, v161
	v_and_b32_e32 v135, 0xff, v135
	v_bfe_i32 v162, v146, 0, 8
	v_cndmask_b32_e64 v144, v144, v176, s18
	v_mul_lo_u32 v165, vcc_hi, v149
	v_sub_nc_u16 v177, 0, v145
	v_cmp_le_u32_e64 s21, vcc_hi, v131
	v_sub_nc_u32_e32 v132, v132, v164
	s_and_b32 s19, s26, s19
	v_mul_hi_u32 v151, v135, s25
	v_cmp_gt_i16_e64 s20, 0, v162
	v_and_b32_e32 v144, 0xff, v144
	v_cndmask_b32_e64 v145, v145, v177, s19
	v_mul_lo_u32 v166, vcc_hi, v150
	v_add_co_ci_u32_e64 v131, s21, 0, v147, s21
	v_sub_nc_u16 v178, 0, v146
	v_cmp_le_u32_e64 s21, vcc_hi, v132
	v_sub_nc_u32_e32 v133, v133, v165
	s_and_b32 s20, s26, s20
	v_mul_hi_u32 v160, v144, s25
	v_and_b32_e32 v145, 0xff, v145
	v_cndmask_b32_e64 v146, v146, v178, s20
	v_mul_lo_u32 v167, vcc_hi, v151
	v_add_co_ci_u32_e64 v132, s21, 0, v148, s21
	v_cmp_le_u32_e64 s21, vcc_hi, v133
	v_sub_nc_u32_e32 v134, v134, v166
	v_mul_hi_u32 v161, v145, s25
	v_and_b32_e32 v146, 0xff, v146
	v_mul_lo_u32 v176, vcc_hi, v160
	v_add_co_ci_u32_e64 v133, s21, 0, v149, s21
	v_cmp_le_u32_e64 s21, vcc_hi, v134
	v_sub_nc_u32_e32 v135, v135, v167
	v_mul_hi_u32 v162, v146, s25
	v_mul_lo_u32 v177, vcc_hi, v161
	v_sub_nc_u32_e32 v147, 0, v131
	v_add_co_ci_u32_e64 v134, s21, 0, v150, s21
	v_cmp_le_u32_e64 s21, vcc_hi, v135
	v_sub_nc_u32_e32 v144, v144, v176
	v_sub_nc_u32_e32 v148, 0, v132
	v_mul_lo_u32 v178, vcc_hi, v162
	v_sub_nc_u32_e32 v145, v145, v177
	v_add_co_ci_u32_e64 v135, s21, 0, v151, s21
	v_cmp_le_u32_e64 s21, vcc_hi, v144
	v_sub_nc_u32_e32 v149, 0, v133
	v_sub_nc_u32_e32 v150, 0, v134
	s_delay_alu instid0(VALU_DEP_4)
	v_sub_nc_u32_e32 v151, 0, v135
	v_sub_nc_u32_e32 v146, v146, v178
	v_add_co_ci_u32_e64 v144, s21, 0, v160, s21
	v_cmp_le_u32_e64 s21, vcc_hi, v145
	v_cndmask_b32_e64 v131, v131, v147, s13
	v_cndmask_b32_e64 v132, v132, v148, s14
	s_delay_alu instid0(VALU_DEP_4)
	v_sub_nc_u32_e32 v160, 0, v144
	v_cndmask_b32_e64 v133, v133, v149, s15
	v_add_co_ci_u32_e64 v145, s21, 0, v161, s21
	v_cmp_le_u32_e64 s21, vcc_hi, v146
	v_cndmask_b32_e64 v134, v134, v150, s16
	v_cndmask_b32_e64 v135, v135, v151, s17
	s_delay_alu instid0(VALU_DEP_4) | instskip(SKIP_3) | instid1(VALU_DEP_3)
	v_sub_nc_u32_e32 v161, 0, v145
	v_cndmask_b32_e64 v144, v144, v160, s18
	v_add_co_ci_u32_e64 v146, s21, 0, v162, s21
	s_or_b32 s24, vcc_lo, s24
	v_cndmask_b32_e64 v145, v145, v161, s19
	s_delay_alu instid0(VALU_DEP_2) | instskip(NEXT) | instid1(VALU_DEP_1)
	v_sub_nc_u32_e32 v162, 0, v146
	v_cndmask_b32_e64 v146, v146, v162, s20
	s_clause 0x7
	flat_store_b8 v[52:53], v131 glc slc dlc
	flat_store_b8 v[52:53], v132 offset:32 glc slc dlc
	flat_store_b8 v[52:53], v133 offset:64 glc slc dlc
	flat_store_b8 v[52:53], v134 offset:96 glc slc dlc
	flat_store_b8 v[52:53], v135 offset:128 glc slc dlc
	flat_store_b8 v[52:53], v144 offset:160 glc slc dlc
	flat_store_b8 v[52:53], v145 offset:192 glc slc dlc
	flat_store_b8 v[52:53], v146 offset:224 glc slc dlc
	s_clause 0x7
	flat_store_b8 v[54:55], v131 glc slc dlc
	flat_store_b8 v[54:55], v132 offset:32 glc slc dlc
	flat_store_b8 v[54:55], v133 offset:64 glc slc dlc
	;; [unrolled: 1-line block ×7, first 2 shown]
	v_add_co_u32 v52, s13, v52, v99
	s_delay_alu instid0(VALU_DEP_1) | instskip(SKIP_1) | instid1(VALU_DEP_1)
	v_add_co_ci_u32_e64 v53, s13, v53, v100, s13
	v_add_co_u32 v54, s13, v54, v99
	v_add_co_ci_u32_e64 v55, s13, v55, v100, s13
	s_and_not1_b32 exec_lo, exec_lo, s24
	s_cbranch_execnz .LBB2_673
; %bb.674:                              ;   in Loop: Header=BB2_559 Depth=2
	s_or_b32 exec_lo, exec_lo, s24
.LBB2_675:                              ;   in Loop: Header=BB2_559 Depth=2
	s_delay_alu instid0(SALU_CYCLE_1) | instskip(SKIP_2) | instid1(VALU_DEP_1)
	s_or_b32 exec_lo, exec_lo, s23
	v_lshlrev_b32_e32 v8, 8, v67
	s_mov_b32 s15, exec_lo
	v_cmpx_ne_u32_e64 v65, v8
	s_cbranch_execz .LBB2_682
; %bb.676:                              ;   in Loop: Header=BB2_559 Depth=2
	v_ashrrev_i32_e32 v9, 31, v66
	v_lshlrev_b32_e32 v2, 5, v2
	s_delay_alu instid0(VALU_DEP_2) | instskip(NEXT) | instid1(VALU_DEP_1)
	v_lshrrev_b32_e32 v9, 27, v9
	v_add_nc_u32_e32 v9, v66, v9
	s_delay_alu instid0(VALU_DEP_1) | instskip(NEXT) | instid1(VALU_DEP_1)
	v_and_b32_e32 v9, 0xffffffe0, v9
	v_sub_nc_u32_e32 v9, v66, v9
	s_delay_alu instid0(VALU_DEP_1) | instskip(NEXT) | instid1(VALU_DEP_1)
	v_sub_nc_u32_e32 v2, v9, v2
	v_add_nc_u32_e32 v8, v8, v2
	s_delay_alu instid0(VALU_DEP_1) | instskip(NEXT) | instid1(VALU_DEP_1)
	v_sub_nc_u32_e32 v2, v65, v8
	v_cmp_lt_i32_e32 vcc_lo, 0, v2
	s_and_b32 exec_lo, exec_lo, vcc_lo
	s_cbranch_execz .LBB2_682
; %bb.677:                              ;   in Loop: Header=BB2_559 Depth=2
	v_cvt_f32_u32_e32 v9, vcc_hi
	s_sub_i32 s14, 0, vcc_hi
	s_mov_b32 s18, 0
	s_delay_alu instid0(VALU_DEP_1) | instskip(SKIP_2) | instid1(VALU_DEP_1)
	v_rcp_iflag_f32_e32 v9, v9
	s_waitcnt_depctr 0xfff
	v_mul_f32_e32 v9, 0x4f7ffffe, v9
	v_cvt_u32_f32_e32 v9, v9
	s_delay_alu instid0(VALU_DEP_1) | instskip(NEXT) | instid1(VALU_DEP_1)
	v_readfirstlane_b32 s13, v9
	s_mul_i32 s14, s14, s13
	s_delay_alu instid0(SALU_CYCLE_1) | instskip(NEXT) | instid1(SALU_CYCLE_1)
	s_mul_hi_u32 s14, s13, s14
	s_add_i32 s13, s13, s14
	s_delay_alu instid0(SALU_CYCLE_1) | instskip(NEXT) | instid1(SALU_CYCLE_1)
	s_mul_hi_u32 s13, s13, -1
	s_mul_i32 s14, s13, vcc_hi
	s_add_i32 s16, s13, 1
	s_not_b32 s14, s14
	s_delay_alu instid0(SALU_CYCLE_1)
	s_sub_i32 s17, s14, vcc_hi
	s_cmp_ge_u32 s14, vcc_hi
	s_cselect_b32 s13, s16, s13
	s_cselect_b32 s14, s17, s14
	s_add_i32 s16, s13, 1
	s_cmp_ge_u32 s14, vcc_hi
	s_cselect_b32 s19, s16, s13
	s_cbranch_execnz .LBB2_1826
; %bb.678:                              ;   in Loop: Header=BB2_559 Depth=2
	ds_load_b128 v[52:55], v0
	v_add_nc_u32_e32 v10, v8, v64
	s_cmp_lt_i32 s30, 0
	s_cselect_b32 s20, -1, 0
	s_delay_alu instid0(VALU_DEP_1) | instskip(SKIP_2) | instid1(VALU_DEP_2)
	v_ashrrev_i32_e32 v11, 31, v10
	s_waitcnt lgkmcnt(0)
	v_add_co_u32 v8, vcc_lo, v52, v10
	v_add_co_ci_u32_e32 v9, vcc_lo, v53, v11, vcc_lo
	s_delay_alu instid0(VALU_DEP_1) | instskip(SKIP_2) | instid1(VALU_DEP_1)
	v_mov_b32_e32 v53, v9
	v_add_co_u32 v10, vcc_lo, v54, v10
	v_add_co_ci_u32_e32 v11, vcc_lo, v55, v11, vcc_lo
	v_dual_mov_b32 v52, v8 :: v_dual_mov_b32 v55, v11
	s_delay_alu instid0(VALU_DEP_3)
	v_mov_b32_e32 v54, v10
.LBB2_679:                              ;   Parent Loop BB2_51 Depth=1
                                        ;     Parent Loop BB2_559 Depth=2
                                        ; =>    This Loop Header: Depth=3
                                        ;         Child Loop BB2_680 Depth 4
	flat_load_u8 v64, v[52:53] slc dlc
	flat_load_u8 v65, v[54:55] slc dlc
	s_mov_b64 s[16:17], 0
	s_mov_b32 s21, -1
	s_waitcnt vmcnt(0) lgkmcnt(0)
	v_add_nc_u16 v64, v65, v64
	s_delay_alu instid0(VALU_DEP_1) | instskip(NEXT) | instid1(VALU_DEP_1)
	v_bfe_i32 v65, v64, 0, 8
	v_cmp_gt_i16_e32 vcc_lo, 0, v65
	v_sub_nc_u16 v65, 0, v64
	s_and_b32 vcc_lo, s20, vcc_lo
	s_delay_alu instid0(VALU_DEP_1) | instskip(NEXT) | instid1(VALU_DEP_1)
	v_cndmask_b32_e32 v64, v64, v65, vcc_lo
	v_and_b32_e32 v64, 0xff, v64
	s_delay_alu instid0(VALU_DEP_1) | instskip(NEXT) | instid1(VALU_DEP_1)
	v_mul_hi_u32 v65, v64, s19
	v_mul_lo_u32 v66, vcc_hi, v65
	s_delay_alu instid0(VALU_DEP_1) | instskip(NEXT) | instid1(VALU_DEP_1)
	v_sub_nc_u32_e32 v64, v64, v66
	v_cmp_le_u32_e64 s13, vcc_hi, v64
	s_delay_alu instid0(VALU_DEP_1) | instskip(NEXT) | instid1(VALU_DEP_1)
	v_add_co_ci_u32_e64 v64, s13, 0, v65, s13
	v_sub_nc_u32_e32 v65, 0, v64
	s_delay_alu instid0(VALU_DEP_1)
	v_cndmask_b32_e32 v64, v64, v65, vcc_lo
.LBB2_680:                              ;   Parent Loop BB2_51 Depth=1
                                        ;     Parent Loop BB2_559 Depth=2
                                        ;       Parent Loop BB2_679 Depth=3
                                        ; =>      This Inner Loop Header: Depth=4
	s_cmp_eq_u32 s16, 1
	s_cselect_b32 vcc_lo, -1, 0
	s_cmp_eq_u32 s16, 0
	v_dual_cndmask_b32 v66, v9, v11 :: v_dual_cndmask_b32 v65, v8, v10
	s_mov_b64 s[16:17], 1
	s_delay_alu instid0(VALU_DEP_1) | instskip(NEXT) | instid1(VALU_DEP_1)
	v_add_co_u32 v67, s13, v65, 32
	v_add_co_ci_u32_e64 v131, s13, 0, v66, s13
	s_cselect_b32 s13, -1, 0
	s_delay_alu instid0(VALU_DEP_2) | instskip(SKIP_1) | instid1(VALU_DEP_3)
	v_cndmask_b32_e32 v10, v10, v67, vcc_lo
	v_cndmask_b32_e64 v8, v8, v67, s13
	v_cndmask_b32_e32 v11, v11, v131, vcc_lo
	v_cndmask_b32_e64 v9, v9, v131, s13
	s_and_b32 s14, exec_lo, s21
	s_mov_b32 s21, 0
	s_mov_b32 vcc_lo, s14
	flat_store_b8 v[65:66], v64 glc slc dlc
	s_cbranch_vccnz .LBB2_680
; %bb.681:                              ;   in Loop: Header=BB2_679 Depth=3
	v_add_co_u32 v52, vcc_lo, v52, v102
	v_add_co_ci_u32_e32 v53, vcc_lo, v53, v103, vcc_lo
	v_add_co_u32 v54, vcc_lo, v54, v102
	v_sub_nc_u32_e32 v2, v2, v87
	v_add_co_ci_u32_e32 v55, vcc_lo, v55, v103, vcc_lo
	v_add_co_u32 v8, vcc_lo, v8, v98
	v_add_co_ci_u32_e32 v9, vcc_lo, v9, v101, vcc_lo
	s_delay_alu instid0(VALU_DEP_4) | instskip(SKIP_1) | instid1(VALU_DEP_1)
	v_cmp_gt_i32_e32 vcc_lo, 1, v2
	v_add_co_u32 v10, s13, v10, v98
	v_add_co_ci_u32_e64 v11, s13, v11, v101, s13
	s_or_b32 s18, vcc_lo, s18
	s_delay_alu instid0(SALU_CYCLE_1)
	s_and_not1_b32 exec_lo, exec_lo, s18
	s_cbranch_execnz .LBB2_679
.LBB2_682:                              ;   in Loop: Header=BB2_559 Depth=2
	s_or_b32 exec_lo, exec_lo, s15
.LBB2_683:                              ;   in Loop: Header=BB2_559 Depth=2
	s_delay_alu instid0(SALU_CYCLE_1)
	s_or_b32 exec_lo, exec_lo, s22
	s_mov_b32 s13, 0
.LBB2_684:                              ;   in Loop: Header=BB2_559 Depth=2
	s_delay_alu instid0(SALU_CYCLE_1)
	s_and_b32 vcc_lo, exec_lo, s13
	s_cbranch_vccz .LBB2_722
; %bb.685:                              ;   in Loop: Header=BB2_559 Depth=2
	s_mov_b32 s13, -1
	s_and_saveexec_b32 s14, s12
	s_cbranch_execz .LBB2_687
; %bb.686:                              ;   in Loop: Header=BB2_559 Depth=2
	ds_load_b32 v2, v0 offset:720
	s_waitcnt lgkmcnt(0)
	v_and_b32_e32 v2, 15, v2
	s_delay_alu instid0(VALU_DEP_1)
	v_cmp_eq_u32_e32 vcc_lo, 0, v2
	s_or_not1_b32 s13, vcc_lo, exec_lo
.LBB2_687:                              ;   in Loop: Header=BB2_559 Depth=2
	s_or_b32 exec_lo, exec_lo, s14
	s_and_saveexec_b32 s14, s5
	s_cbranch_execz .LBB2_689
; %bb.688:                              ;   in Loop: Header=BB2_559 Depth=2
	ds_load_b32 v2, v0 offset:784
	s_waitcnt lgkmcnt(0)
	v_and_b32_e32 v2, 15, v2
	s_delay_alu instid0(VALU_DEP_1) | instskip(SKIP_3) | instid1(SALU_CYCLE_1)
	v_cmp_eq_u32_e32 vcc_lo, 0, v2
	s_and_b32 s15, s13, vcc_lo
	s_and_not1_b32 s13, s13, exec_lo
	s_and_b32 s15, s15, exec_lo
	s_or_b32 s13, s13, s15
.LBB2_689:                              ;   in Loop: Header=BB2_559 Depth=2
	s_or_b32 exec_lo, exec_lo, s14
	s_xor_b32 s13, s13, -1
	v_alignbit_b32 v8, v51, v51, 1
	v_cndmask_b32_e64 v2, 0, 1, s13
	;;#ASMSTART
	;;#ASMEND
	s_delay_alu instid0(VALU_DEP_1)
	v_cmp_ne_u32_e32 vcc_lo, 0, v2
	s_mov_b32 s13, -1
	s_cbranch_vccz .LBB2_691
; %bb.690:                              ;   in Loop: Header=BB2_559 Depth=2
	v_readfirstlane_b32 s14, v8
	v_readfirstlane_b32 s31, v8
	s_mov_b32 s13, 0
	s_mov_b32 s34, -1
	s_delay_alu instid0(VALU_DEP_2)
	s_and_b32 s30, s14, 0x7fffffff
	s_mov_b32 s14, 0
	s_branch .LBB2_692
.LBB2_691:                              ;   in Loop: Header=BB2_559 Depth=2
	s_mov_b32 s34, 0
                                        ; implicit-def: $sgpr14
                                        ; implicit-def: $sgpr31
                                        ; implicit-def: $sgpr30
.LBB2_692:                              ;   in Loop: Header=BB2_559 Depth=2
	s_and_not1_b32 vcc_lo, exec_lo, s13
	s_cbranch_vccnz .LBB2_708
; %bb.693:                              ;   in Loop: Header=BB2_559 Depth=2
	v_ashrrev_i32_e32 v2, 31, v130
	v_readfirstlane_b32 s14, v8
	v_sub_nc_u32_e32 v53, v130, v112
	v_readfirstlane_b32 s31, v8
	s_mov_b32 s35, exec_lo
	v_lshrrev_b32_e32 v2, 23, v2
	s_and_b32 s30, s14, 0x7fffffff
	s_delay_alu instid0(VALU_DEP_1) | instskip(NEXT) | instid1(VALU_DEP_1)
	v_add_nc_u32_e32 v9, v130, v2
	v_and_b32_e32 v2, 0xfffffe00, v9
	v_ashrrev_i32_e32 v9, 9, v9
	s_delay_alu instid0(VALU_DEP_2) | instskip(NEXT) | instid1(VALU_DEP_1)
	v_sub_nc_u32_e32 v54, v130, v2
	v_cmp_lt_i32_e32 vcc_lo, 15, v54
	s_delay_alu instid0(VALU_DEP_3)
	v_add_co_ci_u32_e64 v55, s13, v9, v113, vcc_lo
	v_cmpx_lt_i32_e32 15, v53
	s_cbranch_execz .LBB2_698
; %bb.694:                              ;   in Loop: Header=BB2_559 Depth=2
	v_cvt_f32_u32_e32 v8, s30
	s_sub_i32 s14, 0, s30
	s_mov_b32 s36, 0
	s_delay_alu instid0(VALU_DEP_1) | instskip(SKIP_2) | instid1(VALU_DEP_1)
	v_rcp_iflag_f32_e32 v8, v8
	s_waitcnt_depctr 0xfff
	v_mul_f32_e32 v8, 0x4f7ffffe, v8
	v_cvt_u32_f32_e32 v8, v8
	s_delay_alu instid0(VALU_DEP_1) | instskip(NEXT) | instid1(VALU_DEP_1)
	v_readfirstlane_b32 s13, v8
	s_mul_i32 s14, s14, s13
	s_delay_alu instid0(SALU_CYCLE_1) | instskip(NEXT) | instid1(SALU_CYCLE_1)
	s_mul_hi_u32 s14, s13, s14
	s_add_i32 s13, s13, s14
	s_delay_alu instid0(SALU_CYCLE_1) | instskip(NEXT) | instid1(SALU_CYCLE_1)
	s_mul_hi_u32 s13, s13, -1
	s_mul_i32 s14, s13, s30
	s_add_i32 s15, s13, 1
	s_not_b32 s14, s14
	s_delay_alu instid0(SALU_CYCLE_1)
	s_sub_i32 s16, s14, s30
	s_cmp_ge_u32 s14, s30
	s_cselect_b32 s13, s15, s13
	s_cselect_b32 s14, s16, s14
	s_add_i32 s15, s13, 1
	s_cmp_ge_u32 s14, s30
	s_cselect_b32 s37, s15, s13
	s_cbranch_execnz .LBB2_1772
; %bb.695:                              ;   in Loop: Header=BB2_559 Depth=2
	ds_load_b128 v[8:11], v0
	ds_load_b64 v[51:52], v0
	s_cmp_lt_i32 s31, 0
	s_cselect_b32 s38, -1, 0
	s_waitcnt lgkmcnt(1)
	v_add_co_u32 v8, s13, v8, v112
	s_delay_alu instid0(VALU_DEP_1) | instskip(SKIP_1) | instid1(VALU_DEP_1)
	v_add_co_ci_u32_e64 v9, s13, v9, v114, s13
	v_add_co_u32 v10, s13, v10, v112
	v_add_co_ci_u32_e64 v11, s13, v11, v114, s13
	s_waitcnt lgkmcnt(0)
	v_add_co_u32 v51, s13, v51, v112
	s_delay_alu instid0(VALU_DEP_1)
	v_add_co_ci_u32_e64 v52, s13, v52, v114, s13
.LBB2_696:                              ;   Parent Loop BB2_51 Depth=1
                                        ;     Parent Loop BB2_559 Depth=2
                                        ; =>    This Inner Loop Header: Depth=3
	global_load_b128 v[64:67], v[8:9], off slc dlc
	global_load_b128 v[131:134], v[10:11], off slc dlc
	v_add_co_u32 v8, s13, v8, v96
	v_sub_nc_u32_e32 v53, v53, v82
	v_add_co_ci_u32_e64 v9, s13, v9, v97, s13
	v_add_co_u32 v10, s13, v10, v96
	s_delay_alu instid0(VALU_DEP_1) | instskip(NEXT) | instid1(VALU_DEP_4)
	v_add_co_ci_u32_e64 v11, s13, v11, v97, s13
	v_cmp_gt_i32_e64 s13, 16, v53
	v_sub_nc_u32_e32 v55, v55, v71
	s_waitcnt vmcnt(1)
	v_and_b32_e32 v135, 0xff00ff, v64
	s_waitcnt vmcnt(0)
	v_and_b32_e32 v144, 0xff00ff, v131
	v_and_b32_e32 v64, 0xff00ff00, v64
	;; [unrolled: 1-line block ×9, first 2 shown]
	v_add_co_u32 v135, null, v144, v135
	v_and_b32_e32 v149, 0xff00ff, v67
	v_and_b32_e32 v150, 0xff00ff, v134
	v_and_b32_e32 v67, 0xff00ff00, v67
	v_and_b32_e32 v134, 0xff00ff00, v134
	v_add_nc_u32_e32 v64, v131, v64
	v_add_nc_u32_e32 v65, v132, v65
	v_add_co_u32 v132, null, v148, v147
	v_bfe_i32 v147, v135, 0, 8
	v_and_b32_e32 v66, 0xff00ff00, v66
	v_and_b32_e32 v133, 0xff00ff00, v133
	v_add_nc_u32_e32 v67, v134, v67
	v_perm_b32 v134, v64, v135, 0x7020500
	v_cmp_gt_i16_e64 s14, 0, v147
	v_add_co_u32 v131, null, v146, v145
	v_sub_nc_u16 v148, 0, v135
	v_add_nc_u32_e32 v66, v133, v66
	v_add_co_u32 v133, null, v150, v149
	v_lshrrev_b32_e32 v149, 8, v64
	v_lshrrev_b32_e32 v64, 24, v64
	v_and_b32_e32 v147, 0x8000, v134
	v_and_b32_e32 v134, s31, v134
	s_and_b32 s14, s38, s14
	v_perm_b32 v144, v65, v131, 0x7020500
	v_lshrrev_b32_e32 v150, 16, v135
	v_bfe_i32 v151, v131, 0, 8
	v_cndmask_b32_e64 v135, v135, v148, s14
	v_sub_nc_u16 v182, 0, v64
	v_cmp_lt_i32_e64 s20, -1, v134
	v_sub_nc_u16 v160, 0, v131
	v_cmp_gt_i16_e64 s15, 0, v151
	v_and_b32_e32 v151, 0x8000, v144
	v_and_b32_e32 v134, 0xff, v135
	v_cndmask_b32_e64 v64, v182, v64, s20
	v_perm_b32 v145, v66, v132, 0x7020500
	v_lshrrev_b32_e32 v161, 8, v65
	v_lshrrev_b32_e32 v65, 24, v65
	v_bfe_i32 v163, v132, 0, 8
	v_and_b32_e32 v144, s31, v144
	s_and_b32 s15, s38, s15
	v_cmp_ne_u32_e64 s21, 0, v151
	v_mul_hi_u32 v151, v134, s37
	v_lshrrev_b32_e32 v162, 16, v131
	v_and_b32_e32 v64, 0xff, v64
	v_cndmask_b32_e64 v131, v131, v160, s15
	v_sub_nc_u16 v183, 0, v161
	v_sub_nc_u16 v42, 0, v65
	v_cmp_gt_i16_e64 s16, 0, v163
	v_and_b32_e32 v163, 0x8000, v145
	v_and_b32_e32 v145, s31, v145
	v_cmp_lt_i32_e64 s23, -1, v144
	v_bfe_i32 v40, v162, 0, 8
	s_and_b32 s21, s38, s21
	v_mul_hi_u32 v160, v64, s37
	v_and_b32_e32 v131, 0xff, v131
	v_perm_b32 v146, v67, v133, 0x7020500
	v_bfe_i32 v167, v133, 0, 8
	v_cndmask_b32_e64 v65, v42, v65, s23
	v_cmp_lt_i32_e64 s26, -1, v145
	v_cndmask_b32_e64 v145, v161, v183, s21
	v_mul_lo_u32 v183, s30, v151
	v_sub_nc_u16 v164, 0, v132
	v_lshrrev_b32_e32 v165, 8, v66
	v_lshrrev_b32_e32 v66, 24, v66
	v_cmp_gt_i16_e64 s22, 0, v40
	s_and_b32 s16, s38, s16
	v_mul_hi_u32 v161, v131, s37
	v_sub_nc_u16 v41, 0, v162
	v_cmp_gt_i16_e64 s17, 0, v167
	v_and_b32_e32 v167, 0x8000, v146
	v_and_b32_e32 v146, s31, v146
	;; [unrolled: 1-line block ×3, first 2 shown]
	v_lshrrev_b32_e32 v166, 16, v132
	v_cndmask_b32_e64 v132, v132, v164, s16
	v_mul_lo_u32 v40, s30, v160
	v_sub_nc_u16 v46, 0, v66
	s_and_b32 s22, s38, s22
	v_sub_nc_u32_e32 v134, v134, v183
	v_cmp_lt_i32_e64 s29, -1, v146
	v_cndmask_b32_e64 v146, v162, v41, s22
	v_mul_hi_u32 v162, v65, s37
	v_and_b32_e32 v132, 0xff, v132
	v_cndmask_b32_e64 v66, v46, v66, s26
	v_mul_lo_u32 v41, s30, v161
	v_sub_nc_u16 v176, 0, v133
	v_cmp_le_u32_e64 vcc_hi, s30, v134
	v_lshrrev_b32_e32 v177, 8, v67
	v_lshrrev_b32_e32 v67, 24, v67
	v_sub_nc_u32_e32 v64, v64, v40
	v_cmp_ne_u32_e64 s24, 0, v163
	s_and_b32 s17, s38, s17
	v_mul_hi_u32 v163, v132, s37
	v_and_b32_e32 v66, 0xff, v66
	v_lshrrev_b32_e32 v178, 16, v133
	v_cndmask_b32_e64 v133, v133, v176, s17
	v_mul_lo_u32 v42, s30, v162
	v_add_co_ci_u32_e64 v134, vcc_hi, 0, v151, vcc_hi
	v_sub_nc_u16 v43, 0, v165
	v_sub_nc_u16 v58, 0, v67
	v_cmp_le_u32_e64 vcc_hi, s30, v64
	v_sub_nc_u32_e32 v131, v131, v41
	v_bfe_i32 v44, v166, 0, 8
	s_and_b32 s24, s38, s24
	v_mul_hi_u32 v164, v66, s37
	v_cmp_ne_u32_e64 s18, 0, v147
	v_and_b32_e32 v133, 0xff, v133
	v_bfe_i32 v180, v150, 0, 8
	v_cndmask_b32_e64 v67, v58, v67, s29
	v_cndmask_b32_e64 v147, v165, v43, s24
	v_mul_lo_u32 v43, s30, v163
	v_add_co_ci_u32_e64 v64, vcc_hi, 0, v160, vcc_hi
	v_sub_nc_u16 v179, 0, v149
	v_cmp_le_u32_e64 vcc_hi, s30, v131
	v_sub_nc_u32_e32 v65, v65, v42
	v_cmp_gt_i16_e64 s25, 0, v44
	s_and_b32 s18, s38, s18
	v_mul_hi_u32 v165, v133, s37
	v_sub_nc_u16 v45, 0, v166
	v_cmp_gt_i16_e64 s19, 0, v180
	v_and_b32_e32 v67, 0xff, v67
	v_cndmask_b32_e64 v135, v149, v179, s18
	v_mul_lo_u32 v44, s30, v164
	v_add_co_ci_u32_e64 v131, vcc_hi, 0, v161, vcc_hi
	v_sub_nc_u16 v181, 0, v150
	v_cmp_le_u32_e64 vcc_hi, s30, v65
	s_and_b32 s25, s38, s25
	v_sub_nc_u32_e32 v132, v132, v43
	s_and_b32 s19, s38, s19
	v_cndmask_b32_e64 v148, v166, v45, s25
	v_mul_hi_u32 v166, v67, s37
	v_and_b32_e32 v135, 0xff, v135
	v_cndmask_b32_e64 v144, v150, v181, s19
	v_mul_lo_u32 v45, s30, v165
	v_add_co_ci_u32_e64 v65, vcc_hi, 0, v162, vcc_hi
	v_cmp_le_u32_e64 vcc_hi, s30, v132
	v_sub_nc_u32_e32 v66, v66, v44
	v_cmp_ne_u32_e64 s27, 0, v167
	v_mul_hi_u32 v167, v135, s37
	v_and_b32_e32 v144, 0xff, v144
	v_mul_lo_u32 v46, s30, v166
	v_add_co_ci_u32_e64 v132, vcc_hi, 0, v163, vcc_hi
	v_sub_nc_u16 v47, 0, v177
	v_cmp_le_u32_e64 vcc_hi, s30, v66
	v_sub_nc_u32_e32 v133, v133, v45
	v_bfe_i32 v56, v178, 0, 8
	s_and_b32 s27, s38, s27
	v_mul_hi_u32 v176, v144, s37
	v_and_b32_e32 v145, 0xff, v145
	v_cndmask_b32_e64 v149, v177, v47, s27
	v_mul_lo_u32 v47, s30, v167
	v_add_co_ci_u32_e64 v66, vcc_hi, 0, v164, vcc_hi
	v_cmp_le_u32_e64 vcc_hi, s30, v133
	v_sub_nc_u32_e32 v67, v67, v46
	v_cmp_gt_i16_e64 s28, 0, v56
	v_mul_hi_u32 v177, v145, s37
	v_sub_nc_u16 v57, 0, v178
	v_and_b32_e32 v146, 0xff, v146
	v_mul_lo_u32 v56, s30, v176
	v_add_co_ci_u32_e64 v133, vcc_hi, 0, v165, vcc_hi
	v_cmp_le_u32_e64 vcc_hi, s30, v67
	s_and_b32 s28, s38, s28
	v_sub_nc_u32_e32 v135, v135, v47
	v_cndmask_b32_e64 v150, v178, v57, s28
	v_mul_hi_u32 v178, v146, s37
	v_and_b32_e32 v147, 0xff, v147
	v_mul_lo_u32 v57, s30, v177
	v_add_co_ci_u32_e64 v67, vcc_hi, 0, v166, vcc_hi
	v_cmp_le_u32_e64 vcc_hi, s30, v135
	v_sub_nc_u32_e32 v144, v144, v56
	v_mul_hi_u32 v179, v147, s37
	v_and_b32_e32 v148, 0xff, v148
	v_mul_lo_u32 v58, s30, v178
	v_add_co_ci_u32_e64 v135, vcc_hi, 0, v167, vcc_hi
	v_cmp_le_u32_e64 vcc_hi, s30, v144
	v_sub_nc_u32_e32 v145, v145, v57
	;; [unrolled: 6-line block ×4, first 2 shown]
	v_mul_hi_u32 v182, v150, s37
	v_mul_lo_u32 v61, s30, v181
	v_sub_nc_u32_e32 v151, 0, v134
	v_add_co_ci_u32_e64 v146, vcc_hi, 0, v178, vcc_hi
	v_cmp_le_u32_e64 vcc_hi, s30, v147
	v_sub_nc_u32_e32 v148, v148, v60
	v_sub_nc_u32_e32 v160, 0, v64
	v_mul_lo_u32 v62, s30, v182
	v_sub_nc_u32_e32 v149, v149, v61
	v_add_co_ci_u32_e64 v147, vcc_hi, 0, v179, vcc_hi
	v_cmp_le_u32_e64 vcc_hi, s30, v148
	v_sub_nc_u32_e32 v161, 0, v131
	v_sub_nc_u32_e32 v162, 0, v65
	;; [unrolled: 1-line block ×4, first 2 shown]
	v_add_co_ci_u32_e64 v148, vcc_hi, 0, v180, vcc_hi
	v_cmp_le_u32_e64 vcc_hi, s30, v149
	v_sub_nc_u32_e32 v164, 0, v66
	v_sub_nc_u32_e32 v165, 0, v133
	v_cndmask_b32_e64 v134, v134, v151, s14
	v_sub_nc_u32_e32 v151, 0, v135
	v_add_co_ci_u32_e64 v149, vcc_hi, 0, v181, vcc_hi
	v_cmp_le_u32_e64 vcc_hi, s30, v150
	v_sub_nc_u32_e32 v167, 0, v144
	v_cndmask_b32_e64 v64, v160, v64, s20
	v_cndmask_b32_e64 v131, v131, v161, s15
	v_sub_nc_u32_e32 v160, 0, v145
	v_add_co_ci_u32_e64 v150, vcc_hi, 0, v182, vcc_hi
	v_sub_nc_u32_e32 v161, 0, v146
	v_cndmask_b32_e64 v65, v162, v65, s23
	v_cndmask_b32_e64 v132, v132, v163, s16
	v_sub_nc_u32_e32 v162, 0, v147
	v_sub_nc_u32_e32 v163, 0, v148
	v_cndmask_b32_e64 v66, v164, v66, s26
	v_cndmask_b32_e64 v133, v133, v165, s17
	v_sub_nc_u32_e32 v164, 0, v149
	v_sub_nc_u32_e32 v165, 0, v150
	;; [unrolled: 1-line block ×3, first 2 shown]
	v_cndmask_b32_e64 v135, v135, v151, s18
	v_cndmask_b32_e64 v144, v144, v167, s19
	;; [unrolled: 1-line block ×9, first 2 shown]
	v_lshlrev_b32_e32 v135, 8, v135
	v_and_b32_e32 v144, 0xff, v144
	v_lshlrev_b32_e32 v145, 8, v145
	v_and_b32_e32 v146, 0xff, v146
	;; [unrolled: 2-line block ×4, first 2 shown]
	v_lshlrev_b32_e32 v64, 24, v64
	v_lshlrev_b32_e32 v65, 24, v65
	;; [unrolled: 1-line block ×5, first 2 shown]
	v_perm_b32 v134, v135, v134, 0xc0c0500
	v_lshlrev_b32_e32 v135, 16, v146
	v_perm_b32 v131, v145, v131, 0xc0c0500
	v_lshlrev_b32_e32 v145, 16, v148
	;; [unrolled: 2-line block ×3, first 2 shown]
	v_perm_b32 v133, v149, v133, 0xc0c0500
	v_or3_b32 v64, v64, v144, v134
	v_or3_b32 v65, v65, v135, v131
	;; [unrolled: 1-line block ×3, first 2 shown]
	s_or_b32 s36, s13, s36
	v_or3_b32 v67, v67, v146, v133
	global_store_b128 v[51:52], v[64:67], off glc slc dlc
	v_add_co_u32 v51, s14, v51, v96
	s_delay_alu instid0(VALU_DEP_1)
	v_add_co_ci_u32_e64 v52, s14, v52, v97, s14
	s_and_not1_b32 exec_lo, exec_lo, s36
	s_cbranch_execnz .LBB2_696
; %bb.697:                              ;   in Loop: Header=BB2_559 Depth=2
	s_or_b32 exec_lo, exec_lo, s36
.LBB2_698:                              ;   in Loop: Header=BB2_559 Depth=2
	s_delay_alu instid0(SALU_CYCLE_1) | instskip(SKIP_2) | instid1(VALU_DEP_1)
	s_or_b32 exec_lo, exec_lo, s35
	v_and_b32_e32 v9, 15, v130
	s_mov_b32 s35, exec_lo
                                        ; implicit-def: $vgpr67
                                        ; implicit-def: $vgpr66
                                        ; implicit-def: $vgpr131
                                        ; implicit-def: $vgpr8
	v_cndmask_b32_e32 v53, v54, v9, vcc_lo
	s_delay_alu instid0(VALU_DEP_1)
	v_cmpx_ne_u32_e32 0, v53
	s_cbranch_execz .LBB2_707
; %bb.699:                              ;   in Loop: Header=BB2_559 Depth=2
	v_cmp_lt_i32_e64 s13, 0, v55
	v_ashrrev_i32_e32 v11, 31, v53
	v_sub_nc_u32_e32 v9, v54, v9
	s_mov_b32 s36, exec_lo
	s_delay_alu instid0(VALU_DEP_3) | instskip(NEXT) | instid1(VALU_DEP_3)
	v_cndmask_b32_e64 v8, 0, v71, s13
	v_lshrrev_b32_e32 v11, 23, v11
	s_delay_alu instid0(VALU_DEP_3) | instskip(NEXT) | instid1(VALU_DEP_3)
	v_cndmask_b32_e32 v9, 0, v9, vcc_lo
	v_sub_nc_u32_e32 v8, v8, v55
	s_delay_alu instid0(VALU_DEP_3) | instskip(NEXT) | instid1(VALU_DEP_3)
	v_add_nc_u32_e32 v11, v53, v11
	v_add_nc_u32_e32 v2, v9, v2
	s_delay_alu instid0(VALU_DEP_3) | instskip(NEXT) | instid1(VALU_DEP_3)
	v_lshl_add_u32 v8, v8, 5, v81
	v_and_b32_e32 v55, 0xfffffe00, v11
	v_ashrrev_i32_e32 v11, 9, v11
	s_delay_alu instid0(VALU_DEP_3) | instskip(NEXT) | instid1(VALU_DEP_3)
	v_ashrrev_i32_e32 v10, 31, v8
	v_sub_nc_u32_e32 v54, v53, v55
	s_delay_alu instid0(VALU_DEP_2) | instskip(NEXT) | instid1(VALU_DEP_2)
	v_lshrrev_b32_e32 v10, 27, v10
	v_cmp_lt_i32_e32 vcc_lo, 15, v54
	s_delay_alu instid0(VALU_DEP_2) | instskip(SKIP_1) | instid1(VALU_DEP_2)
	v_add_nc_u32_e32 v10, v8, v10
	v_add_co_ci_u32_e64 v11, s13, 0, v11, vcc_lo
	v_and_b32_e32 v51, 0xffffffe0, v10
	v_ashrrev_i32_e32 v10, 5, v10
	s_delay_alu instid0(VALU_DEP_2) | instskip(NEXT) | instid1(VALU_DEP_2)
	v_sub_nc_u32_e32 v64, v8, v51
	v_sub_nc_u32_e32 v65, v11, v10
	s_delay_alu instid0(VALU_DEP_2) | instskip(NEXT) | instid1(VALU_DEP_1)
	v_lshlrev_b32_e32 v8, 4, v64
	v_lshl_add_u32 v8, v10, 9, v8
	s_delay_alu instid0(VALU_DEP_1) | instskip(NEXT) | instid1(VALU_DEP_1)
	v_sub_nc_u32_e32 v66, v53, v8
	v_cmpx_lt_i32_e32 15, v66
	s_cbranch_execz .LBB2_704
; %bb.700:                              ;   in Loop: Header=BB2_559 Depth=2
	v_cvt_f32_u32_e32 v9, s30
	s_sub_i32 s14, 0, s30
	s_mov_b32 s37, 0
	s_delay_alu instid0(VALU_DEP_1) | instskip(SKIP_2) | instid1(VALU_DEP_1)
	v_rcp_iflag_f32_e32 v9, v9
	s_waitcnt_depctr 0xfff
	v_mul_f32_e32 v9, 0x4f7ffffe, v9
	v_cvt_u32_f32_e32 v9, v9
	s_delay_alu instid0(VALU_DEP_1) | instskip(NEXT) | instid1(VALU_DEP_1)
	v_readfirstlane_b32 s13, v9
	s_mul_i32 s14, s14, s13
	s_delay_alu instid0(SALU_CYCLE_1) | instskip(NEXT) | instid1(SALU_CYCLE_1)
	s_mul_hi_u32 s14, s13, s14
	s_add_i32 s13, s13, s14
	s_delay_alu instid0(SALU_CYCLE_1) | instskip(NEXT) | instid1(SALU_CYCLE_1)
	s_mul_hi_u32 s13, s13, -1
	s_mul_i32 s14, s13, s30
	s_add_i32 s15, s13, 1
	s_not_b32 s14, s14
	s_delay_alu instid0(SALU_CYCLE_1)
	s_sub_i32 s16, s14, s30
	s_cmp_ge_u32 s14, s30
	s_cselect_b32 s13, s15, s13
	s_cselect_b32 s14, s16, s14
	s_add_i32 s15, s13, 1
	s_cmp_ge_u32 s14, s30
	s_cselect_b32 s38, s15, s13
	s_cbranch_execnz .LBB2_1840
; %bb.701:                              ;   in Loop: Header=BB2_559 Depth=2
	ds_load_b128 v[131:134], v0
	ds_load_b64 v[51:52], v0
	v_add_nc_u32_e32 v67, v8, v2
	s_cmp_lt_i32 s31, 0
	s_cselect_b32 s39, -1, 0
	s_delay_alu instid0(VALU_DEP_1) | instskip(SKIP_2) | instid1(VALU_DEP_1)
	v_ashrrev_i32_e32 v135, 31, v67
	s_waitcnt lgkmcnt(1)
	v_add_co_u32 v8, s13, v131, v67
	v_add_co_ci_u32_e64 v9, s13, v132, v135, s13
	v_add_co_u32 v10, s13, v133, v67
	s_delay_alu instid0(VALU_DEP_1) | instskip(SKIP_2) | instid1(VALU_DEP_1)
	v_add_co_ci_u32_e64 v11, s13, v134, v135, s13
	s_waitcnt lgkmcnt(0)
	v_add_co_u32 v51, s13, v51, v67
	v_add_co_ci_u32_e64 v52, s13, v52, v135, s13
.LBB2_702:                              ;   Parent Loop BB2_51 Depth=1
                                        ;     Parent Loop BB2_559 Depth=2
                                        ; =>    This Inner Loop Header: Depth=3
	global_load_b128 v[131:134], v[8:9], off slc dlc
	global_load_b128 v[144:147], v[10:11], off slc dlc
	v_add_co_u32 v8, s13, v8, v96
	v_sub_nc_u32_e32 v66, v66, v82
	v_add_co_ci_u32_e64 v9, s13, v9, v97, s13
	v_add_co_u32 v10, s13, v10, v96
	s_delay_alu instid0(VALU_DEP_1) | instskip(NEXT) | instid1(VALU_DEP_4)
	v_add_co_ci_u32_e64 v11, s13, v11, v97, s13
	v_cmp_gt_i32_e64 s13, 16, v66
	v_sub_nc_u32_e32 v65, v65, v71
	s_waitcnt vmcnt(1)
	v_and_b32_e32 v67, 0xff00ff, v131
	s_waitcnt vmcnt(0)
	v_and_b32_e32 v135, 0xff00ff, v144
	v_and_b32_e32 v131, 0xff00ff00, v131
	;; [unrolled: 1-line block ×5, first 2 shown]
	v_add_co_u32 v67, null, v135, v67
	v_and_b32_e32 v133, 0xff00ff00, v133
	v_and_b32_e32 v146, 0xff00ff00, v146
	v_add_nc_u32_e32 v131, v144, v131
	v_add_co_u32 v144, null, v151, v150
	v_bfe_i32 v150, v67, 0, 8
	v_and_b32_e32 v148, 0xff00ff, v132
	v_and_b32_e32 v149, 0xff00ff, v145
	;; [unrolled: 1-line block ×6, first 2 shown]
	v_add_nc_u32_e32 v133, v146, v133
	v_perm_b32 v146, v131, v67, 0x7020500
	v_cmp_gt_i16_e64 s14, 0, v150
	v_and_b32_e32 v134, 0xff00ff00, v134
	v_and_b32_e32 v147, 0xff00ff00, v147
	v_add_co_u32 v135, null, v149, v148
	v_add_nc_u32_e32 v132, v145, v132
	v_sub_nc_u16 v151, 0, v67
	v_add_co_u32 v145, null, v161, v160
	v_lshrrev_b32_e32 v160, 8, v131
	v_lshrrev_b32_e32 v131, 24, v131
	v_and_b32_e32 v150, 0x8000, v146
	v_and_b32_e32 v146, s31, v146
	s_and_b32 s14, s39, s14
	v_add_nc_u32_e32 v134, v147, v134
	v_perm_b32 v147, v132, v135, 0x7020500
	v_lshrrev_b32_e32 v161, 16, v67
	v_bfe_i32 v162, v135, 0, 8
	v_cndmask_b32_e64 v67, v67, v151, s14
	v_sub_nc_u16 v41, 0, v131
	v_cmp_lt_i32_e64 s20, -1, v146
	v_sub_nc_u16 v163, 0, v135
	v_cmp_gt_i16_e64 s15, 0, v162
	v_and_b32_e32 v162, 0x8000, v147
	v_and_b32_e32 v67, 0xff, v67
	v_cndmask_b32_e64 v131, v41, v131, s20
	v_perm_b32 v148, v133, v144, 0x7020500
	v_lshrrev_b32_e32 v164, 8, v132
	v_lshrrev_b32_e32 v132, 24, v132
	v_bfe_i32 v166, v144, 0, 8
	v_and_b32_e32 v147, s31, v147
	s_and_b32 s15, s39, s15
	v_cmp_ne_u32_e64 s21, 0, v162
	v_mul_hi_u32 v162, v67, s38
	v_lshrrev_b32_e32 v165, 16, v135
	v_and_b32_e32 v131, 0xff, v131
	v_cndmask_b32_e64 v135, v135, v163, s15
	v_sub_nc_u16 v42, 0, v164
	v_sub_nc_u16 v45, 0, v132
	v_cmp_gt_i16_e64 s16, 0, v166
	v_and_b32_e32 v166, 0x8000, v148
	v_and_b32_e32 v148, s31, v148
	v_cmp_lt_i32_e64 s23, -1, v147
	v_bfe_i32 v43, v165, 0, 8
	s_and_b32 s21, s39, s21
	v_mul_hi_u32 v163, v131, s38
	v_and_b32_e32 v135, 0xff, v135
	v_perm_b32 v149, v134, v145, 0x7020500
	v_bfe_i32 v178, v145, 0, 8
	v_cndmask_b32_e64 v132, v45, v132, s23
	v_cmp_lt_i32_e64 s26, -1, v148
	v_cndmask_b32_e64 v148, v164, v42, s21
	v_mul_lo_u32 v42, s30, v162
	v_sub_nc_u16 v167, 0, v144
	v_lshrrev_b32_e32 v176, 8, v133
	v_lshrrev_b32_e32 v133, 24, v133
	v_cmp_gt_i16_e64 s22, 0, v43
	s_and_b32 s16, s39, s16
	v_mul_hi_u32 v164, v135, s38
	v_sub_nc_u16 v44, 0, v165
	v_cmp_gt_i16_e64 s17, 0, v178
	v_and_b32_e32 v178, 0x8000, v149
	v_and_b32_e32 v149, s31, v149
	;; [unrolled: 1-line block ×3, first 2 shown]
	v_lshrrev_b32_e32 v177, 16, v144
	v_cndmask_b32_e64 v144, v144, v167, s16
	v_mul_lo_u32 v43, s30, v163
	v_sub_nc_u16 v57, 0, v133
	s_and_b32 s22, s39, s22
	v_sub_nc_u32_e32 v67, v67, v42
	v_cmp_lt_i32_e64 s29, -1, v149
	v_cndmask_b32_e64 v149, v165, v44, s22
	v_mul_hi_u32 v165, v132, s38
	v_and_b32_e32 v144, 0xff, v144
	v_cndmask_b32_e64 v133, v57, v133, s26
	v_mul_lo_u32 v44, s30, v164
	v_sub_nc_u16 v179, 0, v145
	v_cmp_le_u32_e64 vcc_hi, s30, v67
	v_lshrrev_b32_e32 v180, 8, v134
	v_lshrrev_b32_e32 v134, 24, v134
	v_sub_nc_u32_e32 v131, v131, v43
	v_cmp_ne_u32_e64 s24, 0, v166
	s_and_b32 s17, s39, s17
	v_mul_hi_u32 v166, v144, s38
	v_and_b32_e32 v133, 0xff, v133
	v_lshrrev_b32_e32 v181, 16, v145
	v_cndmask_b32_e64 v145, v145, v179, s17
	v_mul_lo_u32 v45, s30, v165
	v_add_co_ci_u32_e64 v67, vcc_hi, 0, v162, vcc_hi
	v_sub_nc_u16 v46, 0, v176
	v_sub_nc_u16 v61, 0, v134
	v_cmp_le_u32_e64 vcc_hi, s30, v131
	v_sub_nc_u32_e32 v135, v135, v44
	v_bfe_i32 v47, v177, 0, 8
	s_and_b32 s24, s39, s24
	v_mul_hi_u32 v167, v133, s38
	v_cmp_ne_u32_e64 s18, 0, v150
	v_and_b32_e32 v145, 0xff, v145
	v_bfe_i32 v183, v161, 0, 8
	v_cndmask_b32_e64 v134, v61, v134, s29
	v_cndmask_b32_e64 v150, v176, v46, s24
	v_mul_lo_u32 v46, s30, v166
	v_add_co_ci_u32_e64 v131, vcc_hi, 0, v163, vcc_hi
	v_sub_nc_u16 v182, 0, v160
	v_cmp_le_u32_e64 vcc_hi, s30, v135
	v_sub_nc_u32_e32 v132, v132, v45
	v_cmp_gt_i16_e64 s25, 0, v47
	s_and_b32 s18, s39, s18
	v_mul_hi_u32 v176, v145, s38
	v_sub_nc_u16 v56, 0, v177
	v_cmp_gt_i16_e64 s19, 0, v183
	v_and_b32_e32 v134, 0xff, v134
	v_cndmask_b32_e64 v146, v160, v182, s18
	v_mul_lo_u32 v47, s30, v167
	v_add_co_ci_u32_e64 v135, vcc_hi, 0, v164, vcc_hi
	v_sub_nc_u16 v40, 0, v161
	v_cmp_le_u32_e64 vcc_hi, s30, v132
	s_and_b32 s25, s39, s25
	v_sub_nc_u32_e32 v144, v144, v46
	s_and_b32 s19, s39, s19
	v_cndmask_b32_e64 v151, v177, v56, s25
	v_mul_hi_u32 v177, v134, s38
	v_and_b32_e32 v146, 0xff, v146
	v_cndmask_b32_e64 v147, v161, v40, s19
	v_mul_lo_u32 v56, s30, v176
	v_add_co_ci_u32_e64 v132, vcc_hi, 0, v165, vcc_hi
	v_cmp_le_u32_e64 vcc_hi, s30, v144
	v_sub_nc_u32_e32 v133, v133, v47
	v_cmp_ne_u32_e64 s27, 0, v178
	v_mul_hi_u32 v178, v146, s38
	v_and_b32_e32 v147, 0xff, v147
	v_mul_lo_u32 v57, s30, v177
	v_add_co_ci_u32_e64 v144, vcc_hi, 0, v166, vcc_hi
	v_sub_nc_u16 v58, 0, v180
	v_cmp_le_u32_e64 vcc_hi, s30, v133
	v_sub_nc_u32_e32 v145, v145, v56
	v_bfe_i32 v59, v181, 0, 8
	s_and_b32 s27, s39, s27
	v_mul_hi_u32 v179, v147, s38
	v_and_b32_e32 v148, 0xff, v148
	v_cndmask_b32_e64 v160, v180, v58, s27
	v_mul_lo_u32 v58, s30, v178
	v_add_co_ci_u32_e64 v133, vcc_hi, 0, v167, vcc_hi
	v_cmp_le_u32_e64 vcc_hi, s30, v145
	v_sub_nc_u32_e32 v134, v134, v57
	v_cmp_gt_i16_e64 s28, 0, v59
	v_mul_hi_u32 v180, v148, s38
	v_sub_nc_u16 v60, 0, v181
	v_and_b32_e32 v149, 0xff, v149
	v_mul_lo_u32 v59, s30, v179
	v_add_co_ci_u32_e64 v145, vcc_hi, 0, v176, vcc_hi
	v_cmp_le_u32_e64 vcc_hi, s30, v134
	s_and_b32 s28, s39, s28
	v_sub_nc_u32_e32 v146, v146, v58
	v_cndmask_b32_e64 v161, v181, v60, s28
	v_mul_hi_u32 v181, v149, s38
	v_and_b32_e32 v150, 0xff, v150
	v_mul_lo_u32 v60, s30, v180
	v_add_co_ci_u32_e64 v134, vcc_hi, 0, v177, vcc_hi
	v_cmp_le_u32_e64 vcc_hi, s30, v146
	v_sub_nc_u32_e32 v147, v147, v59
	v_mul_hi_u32 v182, v150, s38
	v_and_b32_e32 v151, 0xff, v151
	v_mul_lo_u32 v61, s30, v181
	v_add_co_ci_u32_e64 v146, vcc_hi, 0, v178, vcc_hi
	v_cmp_le_u32_e64 vcc_hi, s30, v147
	v_sub_nc_u32_e32 v148, v148, v60
	;; [unrolled: 6-line block ×4, first 2 shown]
	v_mul_hi_u32 v41, v161, s38
	v_mul_lo_u32 v72, s30, v40
	v_sub_nc_u32_e32 v162, 0, v67
	v_add_co_ci_u32_e64 v149, vcc_hi, 0, v181, vcc_hi
	v_cmp_le_u32_e64 vcc_hi, s30, v150
	v_sub_nc_u32_e32 v151, v151, v63
	v_sub_nc_u32_e32 v163, 0, v131
	v_mul_lo_u32 v73, s30, v41
	v_sub_nc_u32_e32 v160, v160, v72
	v_add_co_ci_u32_e64 v150, vcc_hi, 0, v182, vcc_hi
	v_cmp_le_u32_e64 vcc_hi, s30, v151
	v_sub_nc_u32_e32 v164, 0, v135
	v_sub_nc_u32_e32 v165, 0, v132
	;; [unrolled: 1-line block ×4, first 2 shown]
	v_add_co_ci_u32_e64 v151, vcc_hi, 0, v183, vcc_hi
	v_cmp_le_u32_e64 vcc_hi, s30, v160
	v_sub_nc_u32_e32 v167, 0, v133
	v_sub_nc_u32_e32 v176, 0, v145
	v_cndmask_b32_e64 v67, v67, v162, s14
	v_sub_nc_u32_e32 v162, 0, v146
	v_add_co_ci_u32_e64 v160, vcc_hi, 0, v40, vcc_hi
	v_cmp_le_u32_e64 vcc_hi, s30, v161
	v_sub_nc_u32_e32 v178, 0, v147
	v_cndmask_b32_e64 v131, v163, v131, s20
	v_cndmask_b32_e64 v135, v135, v164, s15
	v_sub_nc_u32_e32 v163, 0, v148
	v_add_co_ci_u32_e64 v161, vcc_hi, 0, v41, vcc_hi
	v_sub_nc_u32_e32 v164, 0, v149
	v_cndmask_b32_e64 v132, v165, v132, s23
	v_cndmask_b32_e64 v144, v144, v166, s16
	v_sub_nc_u32_e32 v165, 0, v150
	v_sub_nc_u32_e32 v166, 0, v151
	v_cndmask_b32_e64 v133, v167, v133, s26
	v_cndmask_b32_e64 v145, v145, v176, s17
	v_sub_nc_u32_e32 v167, 0, v160
	v_sub_nc_u32_e32 v176, 0, v161
	;; [unrolled: 1-line block ×3, first 2 shown]
	v_cndmask_b32_e64 v146, v146, v162, s18
	v_cndmask_b32_e64 v147, v147, v178, s19
	v_cndmask_b32_e64 v148, v148, v163, s21
	v_cndmask_b32_e64 v149, v149, v164, s22
	v_cndmask_b32_e64 v150, v150, v165, s24
	v_cndmask_b32_e64 v151, v151, v166, s25
	v_cndmask_b32_e64 v160, v160, v167, s27
	v_cndmask_b32_e64 v161, v161, v176, s28
	v_cndmask_b32_e64 v134, v177, v134, s29
	v_lshlrev_b32_e32 v146, 8, v146
	v_and_b32_e32 v147, 0xff, v147
	v_lshlrev_b32_e32 v148, 8, v148
	v_and_b32_e32 v149, 0xff, v149
	v_lshlrev_b32_e32 v150, 8, v150
	v_and_b32_e32 v151, 0xff, v151
	v_lshlrev_b32_e32 v160, 8, v160
	v_and_b32_e32 v161, 0xff, v161
	v_lshlrev_b32_e32 v131, 24, v131
	v_lshlrev_b32_e32 v132, 24, v132
	;; [unrolled: 1-line block ×5, first 2 shown]
	v_perm_b32 v67, v146, v67, 0xc0c0500
	v_lshlrev_b32_e32 v146, 16, v149
	v_perm_b32 v135, v148, v135, 0xc0c0500
	v_lshlrev_b32_e32 v148, 16, v151
	;; [unrolled: 2-line block ×3, first 2 shown]
	v_perm_b32 v145, v160, v145, 0xc0c0500
	v_or3_b32 v131, v131, v147, v67
	v_or3_b32 v132, v132, v146, v135
	;; [unrolled: 1-line block ×3, first 2 shown]
	s_or_b32 s37, s13, s37
	v_or3_b32 v134, v134, v149, v145
	global_store_b128 v[51:52], v[131:134], off glc slc dlc
	v_add_co_u32 v51, s14, v51, v96
	s_delay_alu instid0(VALU_DEP_1)
	v_add_co_ci_u32_e64 v52, s14, v52, v97, s14
	s_and_not1_b32 exec_lo, exec_lo, s37
	s_cbranch_execnz .LBB2_702
; %bb.703:                              ;   in Loop: Header=BB2_559 Depth=2
	s_or_b32 exec_lo, exec_lo, s37
.LBB2_704:                              ;   in Loop: Header=BB2_559 Depth=2
	s_delay_alu instid0(SALU_CYCLE_1) | instskip(SKIP_3) | instid1(VALU_DEP_1)
	s_or_b32 exec_lo, exec_lo, s36
	v_and_b32_e32 v9, 15, v53
	s_mov_b32 s14, s34
	s_mov_b32 s15, exec_lo
                                        ; implicit-def: $vgpr66
                                        ; implicit-def: $vgpr131
                                        ; implicit-def: $vgpr8
	v_cndmask_b32_e32 v67, v54, v9, vcc_lo
	s_delay_alu instid0(VALU_DEP_1)
	v_cmpx_ne_u32_e32 0, v67
; %bb.705:                              ;   in Loop: Header=BB2_559 Depth=2
	v_cmp_lt_i32_e64 s13, 0, v65
	v_sub_nc_u32_e32 v9, v54, v9
	s_or_b32 s14, s34, exec_lo
	s_delay_alu instid0(VALU_DEP_2) | instskip(NEXT) | instid1(VALU_DEP_1)
	v_cndmask_b32_e64 v8, 0, v71, s13
	v_sub_nc_u32_e32 v8, v8, v65
	s_delay_alu instid0(VALU_DEP_1) | instskip(NEXT) | instid1(VALU_DEP_1)
	v_lshl_add_u32 v131, v8, 5, v64
	v_ashrrev_i32_e32 v8, 31, v131
	s_delay_alu instid0(VALU_DEP_1) | instskip(NEXT) | instid1(VALU_DEP_1)
	v_lshrrev_b32_e32 v8, 27, v8
	v_dual_cndmask_b32 v9, 0, v9 :: v_dual_add_nc_u32 v8, v131, v8
	s_delay_alu instid0(VALU_DEP_1) | instskip(NEXT) | instid1(VALU_DEP_2)
	v_add3_u32 v66, v55, v2, v9
	v_ashrrev_i32_e32 v8, 5, v8
; %bb.706:                              ;   in Loop: Header=BB2_559 Depth=2
	s_or_b32 exec_lo, exec_lo, s15
	s_delay_alu instid0(SALU_CYCLE_1) | instskip(SKIP_1) | instid1(SALU_CYCLE_1)
	s_and_not1_b32 s13, s34, exec_lo
	s_and_b32 s14, s14, exec_lo
	s_or_b32 s34, s13, s14
.LBB2_707:                              ;   in Loop: Header=BB2_559 Depth=2
	s_or_b32 exec_lo, exec_lo, s35
	s_branch .LBB2_709
.LBB2_708:                              ;   in Loop: Header=BB2_559 Depth=2
	v_dual_mov_b32 v66, s14 :: v_dual_mov_b32 v67, v130
	v_mov_b32_e32 v131, v0
	v_mov_b32_e32 v8, v80
.LBB2_709:                              ;   in Loop: Header=BB2_559 Depth=2
	s_and_saveexec_b32 s22, s34
	s_cbranch_execz .LBB2_721
; %bb.710:                              ;   in Loop: Header=BB2_559 Depth=2
	v_ashrrev_i32_e32 v2, 31, v67
	s_mov_b32 s23, exec_lo
	s_delay_alu instid0(VALU_DEP_1) | instskip(NEXT) | instid1(VALU_DEP_1)
	v_lshrrev_b32_e32 v2, 24, v2
	v_add_nc_u32_e32 v2, v67, v2
	s_delay_alu instid0(VALU_DEP_1) | instskip(NEXT) | instid1(VALU_DEP_1)
	v_ashrrev_i32_e32 v53, 8, v2
	v_sub_nc_u32_e32 v2, v53, v8
	s_delay_alu instid0(VALU_DEP_1)
	v_cmpx_lt_i32_e32 0, v2
	s_cbranch_execz .LBB2_715
; %bb.711:                              ;   in Loop: Header=BB2_559 Depth=2
	v_cvt_f32_u32_e32 v9, s30
	s_sub_i32 s14, 0, s30
	s_mov_b32 s24, 0
	s_delay_alu instid0(VALU_DEP_1) | instskip(SKIP_2) | instid1(VALU_DEP_1)
	v_rcp_iflag_f32_e32 v9, v9
	s_waitcnt_depctr 0xfff
	v_mul_f32_e32 v9, 0x4f7ffffe, v9
	v_cvt_u32_f32_e32 v9, v9
	s_delay_alu instid0(VALU_DEP_1) | instskip(NEXT) | instid1(VALU_DEP_1)
	v_readfirstlane_b32 s13, v9
	s_mul_i32 s14, s14, s13
	s_delay_alu instid0(SALU_CYCLE_1) | instskip(NEXT) | instid1(SALU_CYCLE_1)
	s_mul_hi_u32 s14, s13, s14
	s_add_i32 s13, s13, s14
	s_delay_alu instid0(SALU_CYCLE_1) | instskip(NEXT) | instid1(SALU_CYCLE_1)
	s_mul_hi_u32 s13, s13, -1
	s_mul_i32 s14, s13, s30
	s_add_i32 s15, s13, 1
	s_not_b32 s14, s14
	s_delay_alu instid0(SALU_CYCLE_1)
	s_sub_i32 s16, s14, s30
	s_cmp_ge_u32 s14, s30
	s_cselect_b32 s13, s15, s13
	s_cselect_b32 s14, s16, s14
	s_add_i32 s15, s13, 1
	s_cmp_ge_u32 s14, s30
	s_cselect_b32 s25, s15, s13
	s_cbranch_execnz .LBB2_1786
; %bb.712:                              ;   in Loop: Header=BB2_559 Depth=2
	v_ashrrev_i32_e32 v9, 31, v131
	v_lshlrev_b32_e32 v8, 8, v8
	s_cmp_lt_i32 s31, 0
	ds_load_b128 v[132:135], v0
	s_cselect_b32 s26, -1, 0
	v_lshrrev_b32_e32 v9, 27, v9
	s_delay_alu instid0(VALU_DEP_1) | instskip(SKIP_2) | instid1(VALU_DEP_1)
	v_add_nc_u32_e32 v11, v131, v9
	ds_load_b64 v[9:10], v0
	v_and_b32_e32 v11, 0xffffffe0, v11
	v_sub_nc_u32_e32 v11, v131, v11
	s_delay_alu instid0(VALU_DEP_1) | instskip(NEXT) | instid1(VALU_DEP_1)
	v_add3_u32 v51, v66, v11, v8
	v_ashrrev_i32_e32 v52, 31, v51
	s_waitcnt lgkmcnt(0)
	v_add_co_u32 v54, vcc_lo, 0xe0, v9
	v_add_co_ci_u32_e32 v55, vcc_lo, 0, v10, vcc_lo
	v_add_co_u32 v8, vcc_lo, v132, v51
	v_add_co_ci_u32_e32 v9, vcc_lo, v133, v52, vcc_lo
	;; [unrolled: 2-line block ×4, first 2 shown]
.LBB2_713:                              ;   Parent Loop BB2_51 Depth=1
                                        ;     Parent Loop BB2_559 Depth=2
                                        ; =>    This Inner Loop Header: Depth=3
	s_clause 0x7
	flat_load_u8 v150, v[8:9] slc dlc
	flat_load_u8 v151, v[8:9] offset:32 slc dlc
	flat_load_u8 v160, v[8:9] offset:64 slc dlc
	;; [unrolled: 1-line block ×7, first 2 shown]
	s_clause 0x7
	flat_load_u8 v166, v[10:11] slc dlc
	flat_load_u8 v167, v[10:11] offset:32 slc dlc
	flat_load_u8 v176, v[10:11] offset:64 slc dlc
	;; [unrolled: 1-line block ×7, first 2 shown]
	v_add_co_u32 v54, vcc_lo, 0xffffff20, v51
	v_add_co_ci_u32_e32 v55, vcc_lo, -1, v52, vcc_lo
	v_add_co_u32 v64, vcc_lo, 0xffffff40, v51
	v_add_co_ci_u32_e32 v65, vcc_lo, -1, v52, vcc_lo
	;; [unrolled: 2-line block ×7, first 2 shown]
	v_add_co_u32 v8, vcc_lo, v8, v99
	v_sub_nc_u32_e32 v2, v2, v71
	v_add_co_ci_u32_e32 v9, vcc_lo, v9, v100, vcc_lo
	v_add_co_u32 v10, vcc_lo, v10, v99
	v_add_co_ci_u32_e32 v11, vcc_lo, v11, v100, vcc_lo
	s_delay_alu instid0(VALU_DEP_4)
	v_cmp_gt_i32_e32 vcc_lo, 1, v2
	s_waitcnt vmcnt(7) lgkmcnt(7)
	v_add_nc_u16 v150, v166, v150
	s_waitcnt vmcnt(6) lgkmcnt(6)
	v_add_nc_u16 v151, v167, v151
	;; [unrolled: 2-line block ×5, first 2 shown]
	v_bfe_i32 v166, v150, 0, 8
	v_bfe_i32 v167, v151, 0, 8
	v_sub_nc_u16 v182, 0, v150
	v_bfe_i32 v176, v160, 0, 8
	v_sub_nc_u16 v183, 0, v151
	v_cmp_gt_i16_e64 s13, 0, v166
	v_cmp_gt_i16_e64 s14, 0, v167
	v_bfe_i32 v177, v161, 0, 8
	v_cmp_gt_i16_e64 s15, 0, v176
	v_sub_nc_u16 v40, 0, v160
	s_and_b32 s13, s26, s13
	s_and_b32 s14, s26, s14
	v_cndmask_b32_e64 v150, v150, v182, s13
	v_cndmask_b32_e64 v151, v151, v183, s14
	s_and_b32 s15, s26, s15
	v_cmp_gt_i16_e64 s16, 0, v177
	v_bfe_i32 v178, v162, 0, 8
	v_and_b32_e32 v150, 0xff, v150
	v_and_b32_e32 v151, 0xff, v151
	v_cndmask_b32_e64 v160, v160, v40, s15
	s_waitcnt vmcnt(2) lgkmcnt(2)
	v_add_nc_u16 v163, v179, v163
	v_sub_nc_u16 v41, 0, v161
	v_mul_hi_u32 v166, v150, s25
	s_and_b32 s16, s26, s16
	v_mul_hi_u32 v167, v151, s25
	v_cmp_gt_i16_e64 s17, 0, v178
	v_and_b32_e32 v160, 0xff, v160
	v_bfe_i32 v179, v163, 0, 8
	v_cndmask_b32_e64 v161, v161, v41, s16
	s_waitcnt vmcnt(1) lgkmcnt(1)
	v_add_nc_u16 v164, v180, v164
	v_mul_lo_u32 v182, s30, v166
	v_sub_nc_u16 v42, 0, v162
	s_and_b32 s17, s26, s17
	v_mul_hi_u32 v176, v160, s25
	v_cmp_gt_i16_e64 s18, 0, v179
	v_and_b32_e32 v161, 0xff, v161
	v_bfe_i32 v180, v164, 0, 8
	v_cndmask_b32_e64 v162, v162, v42, s17
	v_mul_lo_u32 v183, s30, v167
	s_waitcnt vmcnt(0) lgkmcnt(0)
	v_add_nc_u16 v165, v181, v165
	v_sub_nc_u16 v43, 0, v163
	v_sub_nc_u32_e32 v150, v150, v182
	s_and_b32 s18, s26, s18
	v_mul_hi_u32 v177, v161, s25
	v_cmp_gt_i16_e64 s19, 0, v180
	v_and_b32_e32 v162, 0xff, v162
	v_bfe_i32 v181, v165, 0, 8
	v_cndmask_b32_e64 v163, v163, v43, s18
	v_mul_lo_u32 v40, s30, v176
	v_sub_nc_u16 v44, 0, v164
	v_cmp_le_u32_e64 s21, s30, v150
	v_sub_nc_u32_e32 v151, v151, v183
	s_and_b32 s19, s26, s19
	v_mul_hi_u32 v178, v162, s25
	v_cmp_gt_i16_e64 s20, 0, v181
	v_and_b32_e32 v163, 0xff, v163
	v_cndmask_b32_e64 v164, v164, v44, s19
	v_mul_lo_u32 v41, s30, v177
	v_add_co_ci_u32_e64 v150, s21, 0, v166, s21
	v_sub_nc_u16 v45, 0, v165
	v_cmp_le_u32_e64 s21, s30, v151
	v_sub_nc_u32_e32 v160, v160, v40
	s_and_b32 s20, s26, s20
	v_mul_hi_u32 v179, v163, s25
	v_and_b32_e32 v164, 0xff, v164
	v_cndmask_b32_e64 v165, v165, v45, s20
	v_mul_lo_u32 v42, s30, v178
	v_add_co_ci_u32_e64 v151, s21, 0, v167, s21
	v_cmp_le_u32_e64 s21, s30, v160
	v_sub_nc_u32_e32 v161, v161, v41
	v_mul_hi_u32 v180, v164, s25
	v_and_b32_e32 v165, 0xff, v165
	v_mul_lo_u32 v43, s30, v179
	v_add_co_ci_u32_e64 v160, s21, 0, v176, s21
	v_cmp_le_u32_e64 s21, s30, v161
	v_sub_nc_u32_e32 v162, v162, v42
	v_mul_hi_u32 v181, v165, s25
	v_mul_lo_u32 v44, s30, v180
	v_sub_nc_u32_e32 v166, 0, v150
	v_add_co_ci_u32_e64 v161, s21, 0, v177, s21
	v_cmp_le_u32_e64 s21, s30, v162
	v_sub_nc_u32_e32 v163, v163, v43
	v_sub_nc_u32_e32 v167, 0, v151
	v_mul_lo_u32 v45, s30, v181
	v_sub_nc_u32_e32 v164, v164, v44
	v_add_co_ci_u32_e64 v162, s21, 0, v178, s21
	v_cmp_le_u32_e64 s21, s30, v163
	v_sub_nc_u32_e32 v176, 0, v160
	v_sub_nc_u32_e32 v177, 0, v161
	s_delay_alu instid0(VALU_DEP_4)
	v_sub_nc_u32_e32 v178, 0, v162
	v_sub_nc_u32_e32 v165, v165, v45
	v_add_co_ci_u32_e64 v163, s21, 0, v179, s21
	v_cmp_le_u32_e64 s21, s30, v164
	v_cndmask_b32_e64 v150, v150, v166, s13
	v_cndmask_b32_e64 v151, v151, v167, s14
	s_delay_alu instid0(VALU_DEP_4)
	v_sub_nc_u32_e32 v179, 0, v163
	v_cndmask_b32_e64 v160, v160, v176, s15
	v_add_co_ci_u32_e64 v164, s21, 0, v180, s21
	v_cmp_le_u32_e64 s21, s30, v165
	v_cndmask_b32_e64 v161, v161, v177, s16
	v_cndmask_b32_e64 v162, v162, v178, s17
	s_delay_alu instid0(VALU_DEP_4) | instskip(SKIP_3) | instid1(VALU_DEP_3)
	v_sub_nc_u32_e32 v180, 0, v164
	v_cndmask_b32_e64 v163, v163, v179, s18
	v_add_co_ci_u32_e64 v165, s21, 0, v181, s21
	s_or_b32 s24, vcc_lo, s24
	v_cndmask_b32_e64 v164, v164, v180, s19
	s_delay_alu instid0(VALU_DEP_2) | instskip(NEXT) | instid1(VALU_DEP_1)
	v_sub_nc_u32_e32 v181, 0, v165
	v_cndmask_b32_e64 v165, v165, v181, s20
	flat_store_b8 v[54:55], v150 glc slc dlc
	flat_store_b8 v[64:65], v151 glc slc dlc
	;; [unrolled: 1-line block ×8, first 2 shown]
	v_add_co_u32 v51, s13, v51, v99
	s_delay_alu instid0(VALU_DEP_1)
	v_add_co_ci_u32_e64 v52, s13, v52, v100, s13
	s_and_not1_b32 exec_lo, exec_lo, s24
	s_cbranch_execnz .LBB2_713
; %bb.714:                              ;   in Loop: Header=BB2_559 Depth=2
	s_or_b32 exec_lo, exec_lo, s24
.LBB2_715:                              ;   in Loop: Header=BB2_559 Depth=2
	s_delay_alu instid0(SALU_CYCLE_1) | instskip(SKIP_2) | instid1(VALU_DEP_1)
	s_or_b32 exec_lo, exec_lo, s23
	v_lshlrev_b32_e32 v8, 8, v53
	s_mov_b32 s15, exec_lo
	v_cmpx_ne_u32_e64 v67, v8
	s_cbranch_execz .LBB2_720
; %bb.716:                              ;   in Loop: Header=BB2_559 Depth=2
	v_ashrrev_i32_e32 v9, 31, v131
	v_lshlrev_b32_e32 v2, 5, v2
	s_delay_alu instid0(VALU_DEP_2) | instskip(NEXT) | instid1(VALU_DEP_1)
	v_lshrrev_b32_e32 v9, 27, v9
	v_add_nc_u32_e32 v9, v131, v9
	s_delay_alu instid0(VALU_DEP_1) | instskip(NEXT) | instid1(VALU_DEP_1)
	v_and_b32_e32 v9, 0xffffffe0, v9
	v_sub_nc_u32_e32 v9, v131, v9
	s_delay_alu instid0(VALU_DEP_1) | instskip(NEXT) | instid1(VALU_DEP_1)
	v_sub_nc_u32_e32 v2, v9, v2
	v_add_nc_u32_e32 v8, v8, v2
	s_delay_alu instid0(VALU_DEP_1) | instskip(NEXT) | instid1(VALU_DEP_1)
	v_sub_nc_u32_e32 v2, v67, v8
	v_cmp_lt_i32_e32 vcc_lo, 0, v2
	s_and_b32 exec_lo, exec_lo, vcc_lo
	s_cbranch_execz .LBB2_720
; %bb.717:                              ;   in Loop: Header=BB2_559 Depth=2
	v_cvt_f32_u32_e32 v9, s30
	s_sub_i32 s14, 0, s30
	s_delay_alu instid0(VALU_DEP_1) | instskip(SKIP_2) | instid1(VALU_DEP_1)
	v_rcp_iflag_f32_e32 v9, v9
	s_waitcnt_depctr 0xfff
	v_mul_f32_e32 v9, 0x4f7ffffe, v9
	v_cvt_u32_f32_e32 v9, v9
	s_delay_alu instid0(VALU_DEP_1) | instskip(NEXT) | instid1(VALU_DEP_1)
	v_readfirstlane_b32 s13, v9
	s_mul_i32 s14, s14, s13
	s_delay_alu instid0(SALU_CYCLE_1) | instskip(NEXT) | instid1(SALU_CYCLE_1)
	s_mul_hi_u32 s14, s13, s14
	s_add_i32 s13, s13, s14
	s_delay_alu instid0(SALU_CYCLE_1) | instskip(NEXT) | instid1(SALU_CYCLE_1)
	s_mul_hi_u32 s13, s13, -1
	s_mul_i32 s14, s13, s30
	s_add_i32 s16, s13, 1
	s_not_b32 s14, s14
	s_delay_alu instid0(SALU_CYCLE_1)
	s_sub_i32 s17, s14, s30
	s_cmp_ge_u32 s14, s30
	s_cselect_b32 s13, s16, s13
	s_cselect_b32 s14, s17, s14
	s_add_i32 s17, s13, 1
	s_cmp_ge_u32 s14, s30
	s_mov_b32 s16, 0
	s_cselect_b32 s17, s17, s13
	s_cbranch_execnz .LBB2_1848
; %bb.718:                              ;   in Loop: Header=BB2_559 Depth=2
	ds_load_b128 v[51:54], v0
	ds_load_b64 v[64:65], v0
	v_add_nc_u32_e32 v55, v8, v66
	s_cmp_lt_i32 s31, 0
	s_cselect_b32 s18, -1, 0
	s_delay_alu instid0(VALU_DEP_1) | instskip(SKIP_2) | instid1(VALU_DEP_2)
	v_ashrrev_i32_e32 v66, 31, v55
	s_waitcnt lgkmcnt(1)
	v_add_co_u32 v8, vcc_lo, v51, v55
	v_add_co_ci_u32_e32 v9, vcc_lo, v52, v66, vcc_lo
	v_add_co_u32 v10, vcc_lo, v53, v55
	v_add_co_ci_u32_e32 v11, vcc_lo, v54, v66, vcc_lo
	s_waitcnt lgkmcnt(0)
	v_add_co_u32 v51, vcc_lo, v64, v55
	v_add_co_ci_u32_e32 v52, vcc_lo, v65, v66, vcc_lo
	s_set_inst_prefetch_distance 0x1
.LBB2_719:                              ;   Parent Loop BB2_51 Depth=1
                                        ;     Parent Loop BB2_559 Depth=2
                                        ; =>    This Inner Loop Header: Depth=3
	flat_load_u8 v53, v[8:9] slc dlc
	flat_load_u8 v54, v[10:11] slc dlc
	v_add_co_u32 v8, vcc_lo, v8, v102
	v_add_co_ci_u32_e32 v9, vcc_lo, v9, v103, vcc_lo
	v_add_co_u32 v10, vcc_lo, v10, v102
	v_add_co_ci_u32_e32 v11, vcc_lo, v11, v103, vcc_lo
	v_sub_nc_u32_e32 v2, v2, v87
	s_delay_alu instid0(VALU_DEP_1) | instskip(SKIP_2) | instid1(VALU_DEP_1)
	v_cmp_gt_i32_e64 s13, 1, v2
	s_waitcnt vmcnt(0) lgkmcnt(0)
	v_add_nc_u16 v53, v54, v53
	v_bfe_i32 v54, v53, 0, 8
	v_sub_nc_u16 v55, 0, v53
	s_delay_alu instid0(VALU_DEP_2) | instskip(SKIP_2) | instid1(VALU_DEP_2)
	v_cmp_gt_i16_e32 vcc_lo, 0, v54
	s_and_b32 vcc_lo, s18, vcc_lo
	s_or_b32 s16, s13, s16
	v_cndmask_b32_e32 v53, v53, v55, vcc_lo
	s_delay_alu instid0(VALU_DEP_1) | instskip(NEXT) | instid1(VALU_DEP_1)
	v_and_b32_e32 v53, 0xff, v53
	v_mul_hi_u32 v54, v53, s17
	s_delay_alu instid0(VALU_DEP_1) | instskip(NEXT) | instid1(VALU_DEP_1)
	v_mul_lo_u32 v55, s30, v54
	v_sub_nc_u32_e32 v53, v53, v55
	s_delay_alu instid0(VALU_DEP_1) | instskip(NEXT) | instid1(VALU_DEP_1)
	v_cmp_le_u32_e64 s14, s30, v53
	v_add_co_ci_u32_e64 v53, s14, 0, v54, s14
	s_delay_alu instid0(VALU_DEP_1) | instskip(NEXT) | instid1(VALU_DEP_1)
	v_sub_nc_u32_e32 v54, 0, v53
	v_cndmask_b32_e32 v53, v53, v54, vcc_lo
	flat_store_b8 v[51:52], v53 glc slc dlc
	v_add_co_u32 v51, vcc_lo, v51, v102
	v_add_co_ci_u32_e32 v52, vcc_lo, v52, v103, vcc_lo
	s_and_not1_b32 exec_lo, exec_lo, s16
	s_cbranch_execnz .LBB2_719
.LBB2_720:                              ;   in Loop: Header=BB2_559 Depth=2
	s_set_inst_prefetch_distance 0x2
	s_or_b32 exec_lo, exec_lo, s15
.LBB2_721:                              ;   in Loop: Header=BB2_559 Depth=2
	s_delay_alu instid0(SALU_CYCLE_1)
	s_or_b32 exec_lo, exec_lo, s22
.LBB2_722:                              ;   in Loop: Header=BB2_559 Depth=2
	s_and_saveexec_b32 s13, s3
	s_cbranch_execz .LBB2_744
; %bb.723:                              ;   in Loop: Header=BB2_559 Depth=2
	s_and_saveexec_b32 s14, s4
	s_delay_alu instid0(SALU_CYCLE_1)
	s_xor_b32 s14, exec_lo, s14
	s_cbranch_execz .LBB2_741
; %bb.724:                              ;   in Loop: Header=BB2_559 Depth=2
	s_and_saveexec_b32 s15, s1
	s_cbranch_execz .LBB2_740
; %bb.725:                              ;   in Loop: Header=BB2_559 Depth=2
	s_mov_b32 s17, exec_lo
	s_mov_b32 s16, exec_lo
	v_mbcnt_lo_u32_b32 v2, s17, 0
	s_waitcnt lgkmcnt(0)
	s_waitcnt_vscnt null, 0x0
	buffer_gl1_inv
	buffer_gl0_inv
	v_cmpx_eq_u32_e32 0, v2
	s_cbranch_execz .LBB2_727
; %bb.726:                              ;   in Loop: Header=BB2_559 Depth=2
	s_bcnt1_i32_b32 s17, s17
	s_delay_alu instid0(SALU_CYCLE_1)
	v_mov_b32_e32 v2, s17
	ds_add_u64 v0, v[2:3]
	s_cbranch_execnz .LBB2_1750
.LBB2_727:                              ;   in Loop: Header=BB2_559 Depth=2
	s_or_b32 exec_lo, exec_lo, s16
	s_cbranch_execnz .LBB2_1724
; %bb.728:                              ;   in Loop: Header=BB2_559 Depth=2
	ds_load_b64 v[8:9], v0
	v_add_co_u32 v12, vcc_lo, v12, v71
	v_add_co_ci_u32_e32 v13, vcc_lo, 0, v13, vcc_lo
	s_mov_b32 s16, exec_lo
	s_waitcnt lgkmcnt(0)
	s_delay_alu instid0(VALU_DEP_1)
	v_cmpx_lt_u64_e64 v[8:9], v[12:13]
	s_cbranch_execz .LBB2_739
; %bb.729:                              ;   in Loop: Header=BB2_559 Depth=2
	s_mov_b32 s17, 0
	s_mov_b32 s20, 0
                                        ; implicit-def: $sgpr18
                                        ; implicit-def: $sgpr19
	s_branch .LBB2_731
.LBB2_730:                              ;   in Loop: Header=BB2_731 Depth=3
	s_or_b32 exec_lo, exec_lo, s23
	s_delay_alu instid0(SALU_CYCLE_1) | instskip(NEXT) | instid1(SALU_CYCLE_1)
	s_and_b32 s21, exec_lo, s22
	s_or_b32 s17, s21, s17
	s_and_not1_b32 s18, s18, exec_lo
	s_and_b32 s21, s19, exec_lo
	s_delay_alu instid0(SALU_CYCLE_1)
	s_or_b32 s18, s18, s21
	s_and_not1_b32 exec_lo, exec_lo, s17
	s_cbranch_execz .LBB2_737
.LBB2_731:                              ;   Parent Loop BB2_51 Depth=1
                                        ;     Parent Loop BB2_559 Depth=2
                                        ; =>    This Inner Loop Header: Depth=3
	s_add_i32 s20, s20, 1
                                        ; implicit-def: $sgpr22
	s_delay_alu instid0(SALU_CYCLE_1) | instskip(SKIP_1) | instid1(SALU_CYCLE_1)
	s_cmpk_lg_i32 s20, 0x2710
	s_cselect_b32 s21, -1, 0
	s_and_b32 vcc_lo, exec_lo, s21
	s_cbranch_vccz .LBB2_735
.LBB2_732:                              ;   in Loop: Header=BB2_731 Depth=3
	s_and_not1_b32 s19, s19, exec_lo
	s_and_b32 s23, s22, exec_lo
	s_mov_b32 s22, -1
	s_or_b32 s19, s19, s23
	s_and_saveexec_b32 s23, s21
	s_cbranch_execz .LBB2_730
; %bb.733:                              ;   in Loop: Header=BB2_731 Depth=3
	s_sleep 1
	s_cbranch_execnz .LBB2_1804
; %bb.734:                              ;   in Loop: Header=BB2_731 Depth=3
	ds_load_b64 v[8:9], v0
	s_and_not1_b32 s19, s19, exec_lo
	s_waitcnt lgkmcnt(0)
	v_cmp_ge_u64_e32 vcc_lo, v[8:9], v[12:13]
	s_or_not1_b32 s22, vcc_lo, exec_lo
	s_branch .LBB2_730
.LBB2_735:                              ;   in Loop: Header=BB2_731 Depth=3
	s_cbranch_execnz .LBB2_1822
; %bb.736:                              ;   in Loop: Header=BB2_731 Depth=3
	ds_load_b64 v[8:9], v0
	s_and_not1_b32 s21, s21, exec_lo
	s_mov_b32 s20, 0
	s_mov_b32 s22, -1
	s_waitcnt lgkmcnt(0)
	flat_load_b32 v2, v[8:9] glc
	s_waitcnt vmcnt(0) lgkmcnt(0)
	buffer_gl1_inv
	buffer_gl0_inv
	v_cmp_eq_u32_e32 vcc_lo, 0, v2
	s_and_b32 s23, vcc_lo, exec_lo
	s_delay_alu instid0(SALU_CYCLE_1)
	s_or_b32 s21, s21, s23
	s_branch .LBB2_732
.LBB2_737:                              ;   in Loop: Header=BB2_559 Depth=2
	s_or_b32 exec_lo, exec_lo, s17
	s_and_saveexec_b32 s17, s18
	s_delay_alu instid0(SALU_CYCLE_1)
	s_xor_b32 s17, exec_lo, s17
	s_cbranch_execz .LBB2_739
; %bb.738:                              ;   in Loop: Header=BB2_559 Depth=2
	ds_store_b32 v0, v115
	s_cbranch_execnz .LBB2_1926
.LBB2_739:                              ;   in Loop: Header=BB2_559 Depth=2
	s_or_b32 exec_lo, exec_lo, s16
	;;#ASMSTART
	s_wakeup
	;;#ASMEND
.LBB2_740:                              ;   in Loop: Header=BB2_559 Depth=2
	s_or_b32 exec_lo, exec_lo, s15
.LBB2_741:                              ;   in Loop: Header=BB2_559 Depth=2
	s_and_not1_saveexec_b32 s14, s14
	s_cbranch_execz .LBB2_743
; %bb.742:                              ;   in Loop: Header=BB2_559 Depth=2
	s_waitcnt lgkmcnt(0)
	s_waitcnt_vscnt null, 0x0
	buffer_gl1_inv
	buffer_gl0_inv
	s_barrier
.LBB2_743:                              ;   in Loop: Header=BB2_559 Depth=2
	s_or_b32 exec_lo, exec_lo, s14
.LBB2_744:                              ;   in Loop: Header=BB2_559 Depth=2
	s_delay_alu instid0(SALU_CYCLE_1) | instskip(SKIP_1) | instid1(SALU_CYCLE_1)
	s_or_b32 exec_lo, exec_lo, s13
                                        ; implicit-def: $vgpr2
	s_and_saveexec_b32 s13, s7
	s_xor_b32 s14, exec_lo, s13
	s_cbranch_execz .LBB2_748
; %bb.745:                              ;   in Loop: Header=BB2_559 Depth=2
	v_and_b32_e32 v2, 16, v30
	v_cmp_lt_i32_e32 vcc_lo, 0, v130
	s_delay_alu instid0(VALU_DEP_2) | instskip(SKIP_1) | instid1(VALU_DEP_2)
	v_cmp_ne_u32_e64 s13, 0, v2
	v_and_b32_e32 v2, 16, v30
	s_and_b32 s15, s13, vcc_lo
	s_delay_alu instid0(SALU_CYCLE_1)
	s_and_saveexec_b32 s13, s15
	s_cbranch_execz .LBB2_747
; %bb.746:                              ;   in Loop: Header=BB2_559 Depth=2
	v_mov_b32_e32 v2, 1
	s_waitcnt lgkmcnt(0)
	s_waitcnt_vscnt null, 0x0
	buffer_gl1_inv
	buffer_gl0_inv
.LBB2_747:                              ;   in Loop: Header=BB2_559 Depth=2
	s_or_b32 exec_lo, exec_lo, s13
.LBB2_748:                              ;   in Loop: Header=BB2_559 Depth=2
	s_and_not1_saveexec_b32 s13, s14
	s_cbranch_execz .LBB2_770
; %bb.749:                              ;   in Loop: Header=BB2_559 Depth=2
	s_and_saveexec_b32 s14, s4
	s_delay_alu instid0(SALU_CYCLE_1)
	s_xor_b32 s14, exec_lo, s14
	s_cbranch_execz .LBB2_767
; %bb.750:                              ;   in Loop: Header=BB2_559 Depth=2
	s_and_saveexec_b32 s15, s1
	s_cbranch_execz .LBB2_766
; %bb.751:                              ;   in Loop: Header=BB2_559 Depth=2
	s_mov_b32 s17, exec_lo
	s_mov_b32 s16, exec_lo
	v_mbcnt_lo_u32_b32 v2, s17, 0
	;;#ASMSTART
	s_waitcnt lgkmcnt(0) vmcnt(0)
	;;#ASMEND
	s_delay_alu instid0(VALU_DEP_1)
	v_cmpx_eq_u32_e32 0, v2
	s_cbranch_execz .LBB2_753
; %bb.752:                              ;   in Loop: Header=BB2_559 Depth=2
	s_bcnt1_i32_b32 s17, s17
	s_delay_alu instid0(SALU_CYCLE_1)
	v_mov_b32_e32 v2, s17
	ds_add_u64 v0, v[2:3]
	s_cbranch_execnz .LBB2_1754
.LBB2_753:                              ;   in Loop: Header=BB2_559 Depth=2
	s_or_b32 exec_lo, exec_lo, s16
	s_cbranch_execnz .LBB2_1728
; %bb.754:                              ;   in Loop: Header=BB2_559 Depth=2
	ds_load_b64 v[8:9], v0
	v_add_co_u32 v12, vcc_lo, v12, v71
	v_add_co_ci_u32_e32 v13, vcc_lo, 0, v13, vcc_lo
	s_mov_b32 s16, exec_lo
	s_waitcnt lgkmcnt(0)
	s_delay_alu instid0(VALU_DEP_1)
	v_cmpx_lt_u64_e64 v[8:9], v[12:13]
	s_cbranch_execz .LBB2_765
; %bb.755:                              ;   in Loop: Header=BB2_559 Depth=2
	s_mov_b32 s17, 0
	s_mov_b32 s20, 0
                                        ; implicit-def: $sgpr18
                                        ; implicit-def: $sgpr19
	s_branch .LBB2_757
.LBB2_756:                              ;   in Loop: Header=BB2_757 Depth=3
	s_or_b32 exec_lo, exec_lo, s23
	s_delay_alu instid0(SALU_CYCLE_1) | instskip(NEXT) | instid1(SALU_CYCLE_1)
	s_and_b32 s21, exec_lo, s22
	s_or_b32 s17, s21, s17
	s_and_not1_b32 s18, s18, exec_lo
	s_and_b32 s21, s19, exec_lo
	s_delay_alu instid0(SALU_CYCLE_1)
	s_or_b32 s18, s18, s21
	s_and_not1_b32 exec_lo, exec_lo, s17
	s_cbranch_execz .LBB2_763
.LBB2_757:                              ;   Parent Loop BB2_51 Depth=1
                                        ;     Parent Loop BB2_559 Depth=2
                                        ; =>    This Inner Loop Header: Depth=3
	s_add_i32 s20, s20, 1
                                        ; implicit-def: $sgpr22
	s_delay_alu instid0(SALU_CYCLE_1) | instskip(SKIP_1) | instid1(SALU_CYCLE_1)
	s_cmpk_lg_i32 s20, 0x2710
	s_cselect_b32 s21, -1, 0
	s_and_b32 vcc_lo, exec_lo, s21
	s_cbranch_vccz .LBB2_761
.LBB2_758:                              ;   in Loop: Header=BB2_757 Depth=3
	s_and_not1_b32 s19, s19, exec_lo
	s_and_b32 s23, s22, exec_lo
	s_mov_b32 s22, -1
	s_or_b32 s19, s19, s23
	s_and_saveexec_b32 s23, s21
	s_cbranch_execz .LBB2_756
; %bb.759:                              ;   in Loop: Header=BB2_757 Depth=3
	s_sleep 1
	s_cbranch_execnz .LBB2_1810
; %bb.760:                              ;   in Loop: Header=BB2_757 Depth=3
	ds_load_b64 v[8:9], v0
	s_and_not1_b32 s19, s19, exec_lo
	s_waitcnt lgkmcnt(0)
	v_cmp_ge_u64_e32 vcc_lo, v[8:9], v[12:13]
	s_or_not1_b32 s22, vcc_lo, exec_lo
	s_branch .LBB2_756
.LBB2_761:                              ;   in Loop: Header=BB2_757 Depth=3
	s_cbranch_execnz .LBB2_1828
; %bb.762:                              ;   in Loop: Header=BB2_757 Depth=3
	ds_load_b64 v[8:9], v0
	s_and_not1_b32 s21, s21, exec_lo
	s_mov_b32 s20, 0
	s_mov_b32 s22, -1
	s_waitcnt lgkmcnt(0)
	s_waitcnt_vscnt null, 0x0
	flat_load_b32 v2, v[8:9] glc
	s_waitcnt vmcnt(0) lgkmcnt(0)
	buffer_gl1_inv
	buffer_gl0_inv
	v_cmp_eq_u32_e32 vcc_lo, 0, v2
	s_and_b32 s23, vcc_lo, exec_lo
	s_delay_alu instid0(SALU_CYCLE_1)
	s_or_b32 s21, s21, s23
	s_branch .LBB2_758
.LBB2_763:                              ;   in Loop: Header=BB2_559 Depth=2
	s_or_b32 exec_lo, exec_lo, s17
	s_and_saveexec_b32 s17, s18
	s_delay_alu instid0(SALU_CYCLE_1)
	s_xor_b32 s17, exec_lo, s17
	s_cbranch_execz .LBB2_765
; %bb.764:                              ;   in Loop: Header=BB2_559 Depth=2
	ds_store_b32 v0, v115
	s_cbranch_execnz .LBB2_1928
.LBB2_765:                              ;   in Loop: Header=BB2_559 Depth=2
	s_or_b32 exec_lo, exec_lo, s16
	;;#ASMSTART
	s_wakeup
	;;#ASMEND
.LBB2_766:                              ;   in Loop: Header=BB2_559 Depth=2
	s_or_b32 exec_lo, exec_lo, s15
.LBB2_767:                              ;   in Loop: Header=BB2_559 Depth=2
	s_and_not1_saveexec_b32 s14, s14
	s_cbranch_execz .LBB2_769
; %bb.768:                              ;   in Loop: Header=BB2_559 Depth=2
	;;#ASMSTART
	s_waitcnt lgkmcnt(0) vmcnt(0)
	;;#ASMEND
	s_waitcnt lgkmcnt(0)
	s_waitcnt_vscnt null, 0x0
	s_barrier
.LBB2_769:                              ;   in Loop: Header=BB2_559 Depth=2
	s_or_b32 exec_lo, exec_lo, s14
	v_and_b32_e32 v2, 16, v30
.LBB2_770:                              ;   in Loop: Header=BB2_559 Depth=2
	s_or_b32 exec_lo, exec_lo, s13
	s_delay_alu instid0(VALU_DEP_1) | instskip(SKIP_1) | instid1(SALU_CYCLE_1)
	v_cmp_ne_u32_e32 vcc_lo, 0, v2
	s_xor_b32 s13, s10, -1
	s_and_b32 s14, vcc_lo, s13
	s_delay_alu instid0(SALU_CYCLE_1)
	s_and_saveexec_b32 s13, s14
	s_cbranch_execz .LBB2_772
; %bb.771:                              ;   in Loop: Header=BB2_559 Depth=2
	s_waitcnt lgkmcnt(0)
	s_waitcnt_vscnt null, 0x0
	flat_store_b32 v[26:27], v115
.LBB2_772:                              ;   in Loop: Header=BB2_559 Depth=2
	s_or_b32 exec_lo, exec_lo, s13
	v_and_b32_e32 v2, 48, v30
	s_mov_b32 s13, exec_lo
	s_delay_alu instid0(VALU_DEP_1)
	v_cmpx_ne_u32_e32 0, v2
	s_cbranch_execz .LBB2_774
; %bb.773:                              ;   in Loop: Header=BB2_559 Depth=2
	v_add_co_u32 v22, vcc_lo, v22, 2
	v_add_co_ci_u32_e32 v23, vcc_lo, 0, v23, vcc_lo
	s_waitcnt lgkmcnt(0)
	s_waitcnt_vscnt null, 0x0
	flat_store_b64 v[20:21], v[22:23]
.LBB2_774:                              ;   in Loop: Header=BB2_559 Depth=2
	s_or_b32 exec_lo, exec_lo, s13
	v_add_nc_u32_e32 v119, v50, v119
	v_readlane_b32 s13, v78, 2
	v_readlane_b32 s17, v78, 4
	;; [unrolled: 1-line block ×4, first 2 shown]
	v_cmp_ge_i32_e32 vcc_lo, v119, v118
	s_xor_b32 s13, s13, -1
	v_readlane_b32 s24, v78, 7
	v_readlane_b32 s28, v78, 9
	;; [unrolled: 1-line block ×3, first 2 shown]
	s_or_b32 s13, s13, vcc_lo
	v_readlane_b32 s34, v78, 10
	s_and_b32 s14, exec_lo, s13
	v_readlane_b32 s13, v78, 3
	s_or_b32 s17, s14, s17
	v_readlane_b32 s31, v78, 11
	v_readlane_b32 s35, v78, 12
	;; [unrolled: 1-line block ×3, first 2 shown]
	v_mov_b32_e32 v2, s13
	v_readlane_b32 s29, v78, 14
	v_readlane_b32 s25, v78, 15
	;; [unrolled: 1-line block ×5, first 2 shown]
	v_readlane_b32 vcc_hi, v78, 19
	v_readlane_b32 s27, v78, 20
	v_readlane_b32 s19, v78, 21
	;; [unrolled: 1-line block ×3, first 2 shown]
	s_mov_b32 s16, 0
	s_mov_b32 s38, 2
	s_and_not1_b32 exec_lo, exec_lo, s17
	s_cbranch_execnz .LBB2_559
; %bb.775:                              ;   in Loop: Header=BB2_51 Depth=1
	s_or_b32 exec_lo, exec_lo, s17
	v_readlane_b32 s13, v78, 1
.LBB2_776:                              ;   in Loop: Header=BB2_51 Depth=1
	s_delay_alu instid0(VALU_DEP_1) | instskip(NEXT) | instid1(SALU_CYCLE_1)
	s_or_b32 exec_lo, exec_lo, s13
	s_mov_b32 s15, exec_lo
	v_cmpx_gt_i32_e32 2, v2
	s_cbranch_execz .LBB2_862
; %bb.777:                              ;   in Loop: Header=BB2_51 Depth=1
	v_cmp_eq_u32_e64 s13, 0, v2
	s_mov_b32 s17, s19
	s_mov_b32 s19, s27
	;; [unrolled: 1-line block ×4, first 2 shown]
.LBB2_778:                              ;   Parent Loop BB2_51 Depth=1
                                        ; =>  This Loop Header: Depth=2
                                        ;       Child Loop BB2_784 Depth 3
                                        ;       Child Loop BB2_816 Depth 3
	;; [unrolled: 1-line block ×3, first 2 shown]
	v_and_b32_e32 v2, 12, v30
	s_mov_b32 s36, -1
	s_mov_b32 s27, exec_lo
	s_delay_alu instid0(VALU_DEP_1)
	v_cmpx_ne_u32_e32 0, v2
	s_cbranch_execz .LBB2_792
; %bb.779:                              ;   in Loop: Header=BB2_778 Depth=2
	v_and_b32_e32 v2, 8, v30
	s_delay_alu instid0(VALU_DEP_1) | instskip(SKIP_3) | instid1(VALU_DEP_1)
	v_add_co_u32 v10, vcc_lo, v28, v2
	v_add_co_ci_u32_e32 v11, vcc_lo, 0, v29, vcc_lo
	v_add_co_u32 v8, vcc_lo, v22, 2
	v_add_co_ci_u32_e32 v9, vcc_lo, 0, v23, vcc_lo
	v_cmp_lt_u64_e32 vcc_lo, v[10:11], v[8:9]
	v_mov_b32_e32 v10, 1
	s_and_saveexec_b32 s36, vcc_lo
	s_cbranch_execz .LBB2_791
; %bb.780:                              ;   in Loop: Header=BB2_778 Depth=2
	v_mov_b32_e32 v10, 0
	s_mov_b32 s37, 0
                                        ; implicit-def: $sgpr38
	s_branch .LBB2_784
.LBB2_781:                              ;   in Loop: Header=BB2_784 Depth=3
	s_or_b32 exec_lo, exec_lo, s42
	v_mov_b32_e32 v11, 0
	s_or_not1_b32 s41, s41, exec_lo
.LBB2_782:                              ;   in Loop: Header=BB2_784 Depth=3
	s_or_b32 exec_lo, exec_lo, s40
	s_delay_alu instid0(VALU_DEP_1) | instskip(SKIP_2) | instid1(SALU_CYCLE_1)
	v_mov_b32_e32 v10, v11
	s_and_not1_b32 vcc_lo, s38, exec_lo
	s_and_b32 s38, s41, exec_lo
	s_or_b32 s38, vcc_lo, s38
.LBB2_783:                              ;   in Loop: Header=BB2_784 Depth=3
	s_or_b32 exec_lo, exec_lo, s39
	s_waitcnt vmcnt(0) lgkmcnt(0)
	v_add_co_u32 v51, vcc_lo, v28, v2
	v_add_co_ci_u32_e32 v52, vcc_lo, 0, v29, vcc_lo
	s_xor_b32 s39, s38, -1
	s_delay_alu instid0(VALU_DEP_1) | instskip(SKIP_1) | instid1(SALU_CYCLE_1)
	v_cmp_ge_u64_e32 vcc_lo, v[51:52], v[8:9]
	s_or_b32 vcc_lo, s39, vcc_lo
	s_and_b32 vcc_lo, exec_lo, vcc_lo
	s_delay_alu instid0(SALU_CYCLE_1) | instskip(NEXT) | instid1(SALU_CYCLE_1)
	s_or_b32 s37, vcc_lo, s37
	s_and_not1_b32 exec_lo, exec_lo, s37
	s_cbranch_execz .LBB2_790
.LBB2_784:                              ;   Parent Loop BB2_51 Depth=1
                                        ;     Parent Loop BB2_778 Depth=2
                                        ; =>    This Inner Loop Header: Depth=3
	s_sleep 1
	flat_load_b64 v[28:29], v[20:21] glc
	v_and_b32_e32 v11, 64, v30
	s_and_not1_b32 s38, s38, exec_lo
	s_mov_b32 s39, exec_lo
	s_delay_alu instid0(VALU_DEP_1)
	v_cmpx_eq_u32_e32 0, v11
	s_cbranch_execz .LBB2_783
; %bb.785:                              ;   in Loop: Header=BB2_784 Depth=3
	v_add_nc_u32_e32 v11, 1, v10
	s_mov_b32 s41, -1
	s_mov_b32 s40, exec_lo
	v_cmpx_lt_i32_e32 0x270e, v10
	s_cbranch_execz .LBB2_782
; %bb.786:                              ;   in Loop: Header=BB2_784 Depth=3
	s_cbranch_execnz .LBB2_1524
; %bb.787:                              ;   in Loop: Header=BB2_784 Depth=3
	ds_load_b64 v[10:11], v0
	s_mov_b32 s42, exec_lo
	s_waitcnt vmcnt(0) lgkmcnt(0)
	s_waitcnt_vscnt null, 0x0
	flat_load_b32 v10, v[10:11] glc
	s_waitcnt vmcnt(0) lgkmcnt(0)
	buffer_gl1_inv
	buffer_gl0_inv
	v_cmpx_ne_u32_e32 0, v10
	s_cbranch_execz .LBB2_781
; %bb.788:                              ;   in Loop: Header=BB2_784 Depth=3
	ds_store_b32 v0, v10
	s_cbranch_execnz .LBB2_1578
; %bb.789:                              ;   in Loop: Header=BB2_784 Depth=3
	v_or_b32_e32 v30, 64, v30
	s_xor_b32 s41, exec_lo, -1
	s_branch .LBB2_781
.LBB2_790:                              ;   in Loop: Header=BB2_778 Depth=2
	s_or_b32 exec_lo, exec_lo, s37
	v_and_b32_e32 v10, 12, v30
.LBB2_791:                              ;   in Loop: Header=BB2_778 Depth=2
	s_or_b32 exec_lo, exec_lo, s36
	s_delay_alu instid0(VALU_DEP_1)
	v_cmp_eq_u32_e32 vcc_lo, 0, v10
	;;#ASMSTART
	s_wakeup
	;;#ASMEND
	s_or_not1_b32 s36, vcc_lo, exec_lo
.LBB2_792:                              ;   in Loop: Header=BB2_778 Depth=2
	s_or_b32 exec_lo, exec_lo, s27
	v_sub_nc_u32_e32 v2, v118, v119
	s_xor_b32 s13, s13, -1
	s_delay_alu instid0(SALU_CYCLE_1) | instskip(NEXT) | instid1(SALU_CYCLE_1)
	s_and_b32 s13, exec_lo, s13
	s_or_b32 s21, s13, s21
	s_delay_alu instid0(VALU_DEP_1) | instskip(SKIP_1) | instid1(SALU_CYCLE_1)
	v_min_i32_e32 v50, v50, v2
	s_xor_b32 s13, s36, -1
	s_and_saveexec_b32 s27, s13
	s_cbranch_execz .LBB2_807
; %bb.793:                              ;   in Loop: Header=BB2_778 Depth=2
	v_and_b32_e32 v2, 0x108, v30
	s_mov_b32 s13, exec_lo
	s_delay_alu instid0(VALU_DEP_1)
	v_cmpx_ne_u32_e32 0x108, v2
	s_xor_b32 s13, exec_lo, s13
                                        ; implicit-def: $vgpr8_vgpr9
; %bb.794:                              ;   in Loop: Header=BB2_778 Depth=2
	v_and_b32_e32 v8, 7, v22
; %bb.795:                              ;   in Loop: Header=BB2_778 Depth=2
	s_and_not1_saveexec_b32 s13, s13
	s_cbranch_execz .LBB2_797
; %bb.796:                              ;   in Loop: Header=BB2_778 Depth=2
	v_and_b32_e32 v8, 7, v22
	v_ashrrev_i32_e32 v51, 31, v50
	s_delay_alu instid0(VALU_DEP_2)
	v_mad_u64_u32 v[9:10], null, v8, 24, v[6:7]
	flat_store_b64 v[9:10], v[50:51] offset:8
.LBB2_797:                              ;   in Loop: Header=BB2_778 Depth=2
	s_or_b32 exec_lo, exec_lo, s13
	v_and_b32_e32 v2, 0x100, v30
	s_mov_b32 s13, -1
	s_mov_b32 s36, exec_lo
                                        ; implicit-def: $vgpr9_vgpr10
	s_delay_alu instid0(VALU_DEP_1)
	v_cmpx_ne_u32_e32 0, v2
	s_cbranch_execnz .LBB2_800
; %bb.798:                              ;   in Loop: Header=BB2_778 Depth=2
	s_or_b32 exec_lo, exec_lo, s36
	s_and_saveexec_b32 vcc_lo, s13
	s_cbranch_execnz .LBB2_803
.LBB2_799:                              ;   in Loop: Header=BB2_778 Depth=2
	s_or_b32 exec_lo, exec_lo, vcc_lo
	s_cbranch_execnz .LBB2_1520
	s_branch .LBB2_804
.LBB2_800:                              ;   in Loop: Header=BB2_778 Depth=2
	v_mad_u64_u32 v[51:52], null, v8, 24, v[6:7]
	s_mov_b32 s37, exec_lo
	s_delay_alu instid0(VALU_DEP_1) | instskip(NEXT) | instid1(VALU_DEP_1)
	v_mov_b32_e32 v2, v52
	v_mad_u64_u32 v[9:10], null, v3, 24, v[2:3]
	s_delay_alu instid0(VALU_DEP_1)
	v_mov_b32_e32 v52, v9
                                        ; implicit-def: $vgpr9_vgpr10
	flat_load_b32 v2, v[51:52]
	s_waitcnt vmcnt(0) lgkmcnt(0)
	v_cmp_ne_u32_e32 vcc_lo, 1, v2
	v_cmpx_eq_u32_e32 1, v2
	s_cbranch_execz .LBB2_802
; %bb.801:                              ;   in Loop: Header=BB2_778 Depth=2
	flat_load_b32 v9, v[51:52] offset:4 glc
	s_waitcnt vmcnt(0) lgkmcnt(0)
	v_ashrrev_i32_e32 v10, 31, v9
.LBB2_802:                              ;   in Loop: Header=BB2_778 Depth=2
	s_or_b32 exec_lo, exec_lo, s37
	s_delay_alu instid0(SALU_CYCLE_1)
	s_or_not1_b32 s13, vcc_lo, exec_lo
	s_or_b32 exec_lo, exec_lo, s36
	s_and_saveexec_b32 vcc_lo, s13
	s_cbranch_execz .LBB2_799
.LBB2_803:                              ;   in Loop: Header=BB2_778 Depth=2
	v_mul_lo_u32 v2, v3, v68
	v_mul_lo_u32 v11, v8, v70
	v_mad_u64_u32 v[9:10], null, v8, v68, 0
	s_delay_alu instid0(VALU_DEP_1)
	v_add3_u32 v10, v10, v11, v2
	s_or_b32 exec_lo, exec_lo, vcc_lo
	s_cbranch_execnz .LBB2_1520
.LBB2_804:                              ;   in Loop: Header=BB2_778 Depth=2
	s_delay_alu instid0(VALU_DEP_2)
	v_add_co_u32 v8, vcc_lo, v24, v9
	v_and_b32_e32 v2, 0x2000, v30
	v_add_co_ci_u32_e32 v9, vcc_lo, v25, v10, vcc_lo
	s_mov_b32 s13, exec_lo
	ds_store_b64 v0, v[8:9]
	v_cmpx_ne_u32_e32 0, v2
	s_cbranch_execz .LBB2_806
; %bb.805:                              ;   in Loop: Header=BB2_778 Depth=2
	ds_load_b64 v[8:9], v0 offset:584
	s_waitcnt lgkmcnt(0)
	v_add_co_u32 v8, vcc_lo, v8, 1
	v_add_co_ci_u32_e32 v9, vcc_lo, 0, v9, vcc_lo
	ds_store_b64 v0, v[8:9] offset:584
.LBB2_806:                              ;   in Loop: Header=BB2_778 Depth=2
	s_or_b32 exec_lo, exec_lo, s13
	v_add_co_u32 v22, vcc_lo, v22, 2
	v_add_co_ci_u32_e32 v23, vcc_lo, 0, v23, vcc_lo
.LBB2_807:                              ;   in Loop: Header=BB2_778 Depth=2
	s_or_b32 exec_lo, exec_lo, s27
	s_and_saveexec_b32 s13, s3
	s_cbranch_execz .LBB2_829
; %bb.808:                              ;   in Loop: Header=BB2_778 Depth=2
	s_and_saveexec_b32 s27, s4
	s_delay_alu instid0(SALU_CYCLE_1)
	s_xor_b32 s27, exec_lo, s27
	s_cbranch_execz .LBB2_826
; %bb.809:                              ;   in Loop: Header=BB2_778 Depth=2
	s_and_saveexec_b32 s36, s1
	s_cbranch_execz .LBB2_825
; %bb.810:                              ;   in Loop: Header=BB2_778 Depth=2
	s_mov_b32 s38, exec_lo
	s_mov_b32 s37, exec_lo
	v_mbcnt_lo_u32_b32 v2, s38, 0
	s_waitcnt lgkmcnt(0)
	s_waitcnt_vscnt null, 0x0
	buffer_gl1_inv
	buffer_gl0_inv
	v_cmpx_eq_u32_e32 0, v2
	s_cbranch_execz .LBB2_812
; %bb.811:                              ;   in Loop: Header=BB2_778 Depth=2
	s_bcnt1_i32_b32 vcc_lo, s38
	s_delay_alu instid0(SALU_CYCLE_1)
	v_mov_b32_e32 v2, vcc_lo
	ds_add_u64 v0, v[2:3]
	s_cbranch_execnz .LBB2_1634
.LBB2_812:                              ;   in Loop: Header=BB2_778 Depth=2
	s_or_b32 exec_lo, exec_lo, s37
	s_cbranch_execnz .LBB2_1608
; %bb.813:                              ;   in Loop: Header=BB2_778 Depth=2
	ds_load_b64 v[8:9], v0
	v_add_co_u32 v12, vcc_lo, v12, v71
	v_add_co_ci_u32_e32 v13, vcc_lo, 0, v13, vcc_lo
	s_mov_b32 s37, exec_lo
	s_waitcnt lgkmcnt(0)
	s_delay_alu instid0(VALU_DEP_1)
	v_cmpx_lt_u64_e64 v[8:9], v[12:13]
	s_cbranch_execz .LBB2_824
; %bb.814:                              ;   in Loop: Header=BB2_778 Depth=2
	s_mov_b32 s38, 0
	s_mov_b32 s41, 0
                                        ; implicit-def: $sgpr39
                                        ; implicit-def: $sgpr40
	s_branch .LBB2_816
.LBB2_815:                              ;   in Loop: Header=BB2_816 Depth=3
	s_or_b32 exec_lo, exec_lo, s43
	s_delay_alu instid0(SALU_CYCLE_1) | instskip(NEXT) | instid1(SALU_CYCLE_1)
	s_and_b32 vcc_lo, exec_lo, vcc_lo
	s_or_b32 s38, vcc_lo, s38
	s_and_not1_b32 vcc_lo, s39, exec_lo
	s_and_b32 s39, s40, exec_lo
	s_delay_alu instid0(SALU_CYCLE_1)
	s_or_b32 s39, vcc_lo, s39
	s_and_not1_b32 exec_lo, exec_lo, s38
	s_cbranch_execz .LBB2_822
.LBB2_816:                              ;   Parent Loop BB2_51 Depth=1
                                        ;     Parent Loop BB2_778 Depth=2
                                        ; =>    This Inner Loop Header: Depth=3
	s_add_i32 s41, s41, 1
                                        ; implicit-def: $sgpr43
	s_delay_alu instid0(SALU_CYCLE_1) | instskip(SKIP_1) | instid1(SALU_CYCLE_1)
	s_cmpk_lg_i32 s41, 0x2710
	s_cselect_b32 s42, -1, 0
	s_and_b32 vcc_lo, exec_lo, s42
	s_cbranch_vccz .LBB2_820
.LBB2_817:                              ;   in Loop: Header=BB2_816 Depth=3
	s_and_not1_b32 s40, s40, exec_lo
	s_and_b32 s43, s43, exec_lo
	s_mov_b32 vcc_lo, -1
	s_or_b32 s40, s40, s43
	s_and_saveexec_b32 s43, s42
	s_cbranch_execz .LBB2_815
; %bb.818:                              ;   in Loop: Header=BB2_816 Depth=3
	s_sleep 1
	s_cbranch_execnz .LBB2_1682
; %bb.819:                              ;   in Loop: Header=BB2_816 Depth=3
	ds_load_b64 v[8:9], v0
	s_and_not1_b32 s40, s40, exec_lo
	s_waitcnt lgkmcnt(0)
	v_cmp_ge_u64_e32 vcc_lo, v[8:9], v[12:13]
	s_or_not1_b32 vcc_lo, vcc_lo, exec_lo
	s_branch .LBB2_815
.LBB2_820:                              ;   in Loop: Header=BB2_816 Depth=3
	s_cbranch_execnz .LBB2_1698
; %bb.821:                              ;   in Loop: Header=BB2_816 Depth=3
	ds_load_b64 v[8:9], v0
	s_and_not1_b32 s42, s42, exec_lo
	s_mov_b32 s41, 0
	s_mov_b32 s43, -1
	s_waitcnt lgkmcnt(0)
	flat_load_b32 v2, v[8:9] glc
	s_waitcnt vmcnt(0) lgkmcnt(0)
	buffer_gl1_inv
	buffer_gl0_inv
	v_cmp_eq_u32_e32 vcc_lo, 0, v2
	s_and_b32 vcc_lo, vcc_lo, exec_lo
	s_delay_alu instid0(SALU_CYCLE_1)
	s_or_b32 s42, s42, vcc_lo
	s_branch .LBB2_817
.LBB2_822:                              ;   in Loop: Header=BB2_778 Depth=2
	s_or_b32 exec_lo, exec_lo, s38
	s_and_saveexec_b32 vcc_lo, s39
	s_delay_alu instid0(SALU_CYCLE_1)
	s_xor_b32 vcc_lo, exec_lo, vcc_lo
	s_cbranch_execz .LBB2_824
; %bb.823:                              ;   in Loop: Header=BB2_778 Depth=2
	ds_store_b32 v0, v115
	s_cbranch_execnz .LBB2_1888
.LBB2_824:                              ;   in Loop: Header=BB2_778 Depth=2
	s_or_b32 exec_lo, exec_lo, s37
	;;#ASMSTART
	s_wakeup
	;;#ASMEND
.LBB2_825:                              ;   in Loop: Header=BB2_778 Depth=2
	s_or_b32 exec_lo, exec_lo, s36
.LBB2_826:                              ;   in Loop: Header=BB2_778 Depth=2
	s_and_not1_saveexec_b32 s27, s27
	s_cbranch_execz .LBB2_828
; %bb.827:                              ;   in Loop: Header=BB2_778 Depth=2
	s_waitcnt lgkmcnt(0)
	s_waitcnt_vscnt null, 0x0
	buffer_gl1_inv
	buffer_gl0_inv
	s_barrier
.LBB2_828:                              ;   in Loop: Header=BB2_778 Depth=2
	s_or_b32 exec_lo, exec_lo, s27
.LBB2_829:                              ;   in Loop: Header=BB2_778 Depth=2
	s_delay_alu instid0(SALU_CYCLE_1) | instskip(SKIP_1) | instid1(SALU_CYCLE_1)
	s_or_b32 exec_lo, exec_lo, s13
                                        ; implicit-def: $vgpr2
	s_and_saveexec_b32 s13, s7
	s_xor_b32 s27, exec_lo, s13
	s_cbranch_execz .LBB2_834
; %bb.830:                              ;   in Loop: Header=BB2_778 Depth=2
	s_cbranch_execnz .LBB2_1534
; %bb.831:                              ;   in Loop: Header=BB2_778 Depth=2
	ds_load_b32 v2, v0
	v_cmp_lt_i32_e32 vcc_lo, 0, v50
	s_waitcnt lgkmcnt(0)
	v_readfirstlane_b32 s13, v2
	v_and_b32_e32 v2, 16, v30
	s_delay_alu instid0(VALU_DEP_2) | instskip(NEXT) | instid1(VALU_DEP_1)
	s_cmp_eq_u32 s13, 0
	v_cmp_ne_u32_e64 s13, 0, v2
	s_cselect_b32 s36, -1, 0
	v_and_b32_e32 v2, 16, v30
	s_and_b32 vcc_lo, vcc_lo, s36
	s_delay_alu instid0(VALU_DEP_2) | instid1(SALU_CYCLE_1)
	s_and_b32 vcc_lo, s13, vcc_lo
	s_delay_alu instid0(SALU_CYCLE_1)
	s_and_saveexec_b32 s13, vcc_lo
	s_cbranch_execz .LBB2_833
; %bb.832:                              ;   in Loop: Header=BB2_778 Depth=2
	v_mov_b32_e32 v2, 1
	s_waitcnt_vscnt null, 0x0
	buffer_gl1_inv
	buffer_gl0_inv
.LBB2_833:                              ;   in Loop: Header=BB2_778 Depth=2
	s_or_b32 exec_lo, exec_lo, s13
.LBB2_834:                              ;   in Loop: Header=BB2_778 Depth=2
	s_and_not1_saveexec_b32 s13, s27
	s_cbranch_execz .LBB2_856
; %bb.835:                              ;   in Loop: Header=BB2_778 Depth=2
	s_and_saveexec_b32 s27, s4
	s_delay_alu instid0(SALU_CYCLE_1)
	s_xor_b32 s27, exec_lo, s27
	s_cbranch_execz .LBB2_853
; %bb.836:                              ;   in Loop: Header=BB2_778 Depth=2
	s_and_saveexec_b32 s36, s1
	s_cbranch_execz .LBB2_852
; %bb.837:                              ;   in Loop: Header=BB2_778 Depth=2
	s_mov_b32 s38, exec_lo
	s_mov_b32 s37, exec_lo
	v_mbcnt_lo_u32_b32 v2, s38, 0
	;;#ASMSTART
	s_waitcnt lgkmcnt(0) vmcnt(0)
	;;#ASMEND
	s_delay_alu instid0(VALU_DEP_1)
	v_cmpx_eq_u32_e32 0, v2
	s_cbranch_execz .LBB2_839
; %bb.838:                              ;   in Loop: Header=BB2_778 Depth=2
	s_bcnt1_i32_b32 vcc_lo, s38
	s_delay_alu instid0(SALU_CYCLE_1)
	v_mov_b32_e32 v2, vcc_lo
	ds_add_u64 v0, v[2:3]
	s_cbranch_execnz .LBB2_1644
.LBB2_839:                              ;   in Loop: Header=BB2_778 Depth=2
	s_or_b32 exec_lo, exec_lo, s37
	s_cbranch_execnz .LBB2_1632
; %bb.840:                              ;   in Loop: Header=BB2_778 Depth=2
	ds_load_b64 v[8:9], v0
	v_add_co_u32 v12, vcc_lo, v12, v71
	v_add_co_ci_u32_e32 v13, vcc_lo, 0, v13, vcc_lo
	s_mov_b32 s37, exec_lo
	s_waitcnt lgkmcnt(0)
	s_delay_alu instid0(VALU_DEP_1)
	v_cmpx_lt_u64_e64 v[8:9], v[12:13]
	s_cbranch_execz .LBB2_851
; %bb.841:                              ;   in Loop: Header=BB2_778 Depth=2
	s_mov_b32 s38, 0
	s_mov_b32 s41, 0
                                        ; implicit-def: $sgpr39
                                        ; implicit-def: $sgpr40
	s_branch .LBB2_843
.LBB2_842:                              ;   in Loop: Header=BB2_843 Depth=3
	s_or_b32 exec_lo, exec_lo, s43
	s_delay_alu instid0(SALU_CYCLE_1) | instskip(NEXT) | instid1(SALU_CYCLE_1)
	s_and_b32 vcc_lo, exec_lo, vcc_lo
	s_or_b32 s38, vcc_lo, s38
	s_and_not1_b32 vcc_lo, s39, exec_lo
	s_and_b32 s39, s40, exec_lo
	s_delay_alu instid0(SALU_CYCLE_1)
	s_or_b32 s39, vcc_lo, s39
	s_and_not1_b32 exec_lo, exec_lo, s38
	s_cbranch_execz .LBB2_849
.LBB2_843:                              ;   Parent Loop BB2_51 Depth=1
                                        ;     Parent Loop BB2_778 Depth=2
                                        ; =>    This Inner Loop Header: Depth=3
	s_add_i32 s41, s41, 1
                                        ; implicit-def: $sgpr43
	s_delay_alu instid0(SALU_CYCLE_1) | instskip(SKIP_1) | instid1(SALU_CYCLE_1)
	s_cmpk_lg_i32 s41, 0x2710
	s_cselect_b32 s42, -1, 0
	s_and_b32 vcc_lo, exec_lo, s42
	s_cbranch_vccz .LBB2_847
.LBB2_844:                              ;   in Loop: Header=BB2_843 Depth=3
	s_and_not1_b32 s40, s40, exec_lo
	s_and_b32 s43, s43, exec_lo
	s_mov_b32 vcc_lo, -1
	s_or_b32 s40, s40, s43
	s_and_saveexec_b32 s43, s42
	s_cbranch_execz .LBB2_842
; %bb.845:                              ;   in Loop: Header=BB2_843 Depth=3
	s_sleep 1
	s_cbranch_execnz .LBB2_1706
; %bb.846:                              ;   in Loop: Header=BB2_843 Depth=3
	ds_load_b64 v[8:9], v0
	s_and_not1_b32 s40, s40, exec_lo
	s_waitcnt lgkmcnt(0)
	v_cmp_ge_u64_e32 vcc_lo, v[8:9], v[12:13]
	s_or_not1_b32 vcc_lo, vcc_lo, exec_lo
	s_branch .LBB2_842
.LBB2_847:                              ;   in Loop: Header=BB2_843 Depth=3
	s_cbranch_execnz .LBB2_1718
; %bb.848:                              ;   in Loop: Header=BB2_843 Depth=3
	ds_load_b64 v[8:9], v0
	s_and_not1_b32 s42, s42, exec_lo
	s_mov_b32 s41, 0
	s_mov_b32 s43, -1
	s_waitcnt lgkmcnt(0)
	s_waitcnt_vscnt null, 0x0
	flat_load_b32 v2, v[8:9] glc
	s_waitcnt vmcnt(0) lgkmcnt(0)
	buffer_gl1_inv
	buffer_gl0_inv
	v_cmp_eq_u32_e32 vcc_lo, 0, v2
	s_and_b32 vcc_lo, vcc_lo, exec_lo
	s_delay_alu instid0(SALU_CYCLE_1)
	s_or_b32 s42, s42, vcc_lo
	s_branch .LBB2_844
.LBB2_849:                              ;   in Loop: Header=BB2_778 Depth=2
	s_or_b32 exec_lo, exec_lo, s38
	s_and_saveexec_b32 vcc_lo, s39
	s_delay_alu instid0(SALU_CYCLE_1)
	s_xor_b32 vcc_lo, exec_lo, vcc_lo
	s_cbranch_execz .LBB2_851
; %bb.850:                              ;   in Loop: Header=BB2_778 Depth=2
	ds_store_b32 v0, v115
	s_cbranch_execnz .LBB2_1900
.LBB2_851:                              ;   in Loop: Header=BB2_778 Depth=2
	s_or_b32 exec_lo, exec_lo, s37
	;;#ASMSTART
	s_wakeup
	;;#ASMEND
.LBB2_852:                              ;   in Loop: Header=BB2_778 Depth=2
	s_or_b32 exec_lo, exec_lo, s36
.LBB2_853:                              ;   in Loop: Header=BB2_778 Depth=2
	s_and_not1_saveexec_b32 s27, s27
	s_cbranch_execz .LBB2_855
; %bb.854:                              ;   in Loop: Header=BB2_778 Depth=2
	;;#ASMSTART
	s_waitcnt lgkmcnt(0) vmcnt(0)
	;;#ASMEND
	s_waitcnt lgkmcnt(0)
	s_waitcnt_vscnt null, 0x0
	s_barrier
.LBB2_855:                              ;   in Loop: Header=BB2_778 Depth=2
	s_or_b32 exec_lo, exec_lo, s27
	v_and_b32_e32 v2, 16, v30
.LBB2_856:                              ;   in Loop: Header=BB2_778 Depth=2
	s_or_b32 exec_lo, exec_lo, s13
	s_delay_alu instid0(VALU_DEP_1) | instskip(SKIP_1) | instid1(SALU_CYCLE_1)
	v_cmp_ne_u32_e32 vcc_lo, 0, v2
	s_xor_b32 s13, s10, -1
	s_and_b32 s27, vcc_lo, s13
	s_delay_alu instid0(SALU_CYCLE_1)
	s_and_saveexec_b32 s13, s27
	s_cbranch_execz .LBB2_858
; %bb.857:                              ;   in Loop: Header=BB2_778 Depth=2
	s_waitcnt lgkmcnt(0)
	s_waitcnt_vscnt null, 0x0
	flat_store_b32 v[26:27], v115
.LBB2_858:                              ;   in Loop: Header=BB2_778 Depth=2
	s_or_b32 exec_lo, exec_lo, s13
	v_and_b32_e32 v2, 48, v30
	s_mov_b32 s13, exec_lo
	s_delay_alu instid0(VALU_DEP_1)
	v_cmpx_ne_u32_e32 0, v2
	s_cbranch_execz .LBB2_860
; %bb.859:                              ;   in Loop: Header=BB2_778 Depth=2
	v_add_co_u32 v22, vcc_lo, v22, 2
	v_add_co_ci_u32_e32 v23, vcc_lo, 0, v23, vcc_lo
	s_waitcnt lgkmcnt(0)
	s_waitcnt_vscnt null, 0x0
	flat_store_b64 v[20:21], v[22:23]
.LBB2_860:                              ;   in Loop: Header=BB2_778 Depth=2
	s_or_b32 exec_lo, exec_lo, s13
	v_add_nc_u32_e32 v119, v50, v119
	s_mov_b32 s13, 0
	s_and_not1_b32 exec_lo, exec_lo, s21
	s_cbranch_execnz .LBB2_778
; %bb.861:                              ;   in Loop: Header=BB2_51 Depth=1
	s_or_b32 exec_lo, exec_lo, s21
	s_mov_b32 s21, s16
	s_mov_b32 s27, s19
	;; [unrolled: 1-line block ×3, first 2 shown]
.LBB2_862:                              ;   in Loop: Header=BB2_51 Depth=1
	v_writelane_b32 v78, s21, 13
	v_writelane_b32 v78, s24, 7
	;; [unrolled: 1-line block ×6, first 2 shown]
	s_or_b32 exec_lo, exec_lo, s15
	s_mov_b32 s13, s27
	s_mov_b32 s27, s19
	;; [unrolled: 1-line block ×7, first 2 shown]
	s_and_not1_b32 vcc_lo, exec_lo, s14
	s_cbranch_vccnz .LBB2_1158
; %bb.863:                              ;   in Loop: Header=BB2_51 Depth=1
	s_mov_b32 s13, 1
.LBB2_864:                              ;   Parent Loop BB2_51 Depth=1
                                        ; =>  This Loop Header: Depth=2
                                        ;       Child Loop BB2_866 Depth 3
                                        ;         Child Loop BB2_875 Depth 4
                                        ;         Child Loop BB2_905 Depth 4
	;; [unrolled: 1-line block ×4, first 2 shown]
                                        ;           Child Loop BB2_954 Depth 5
                                        ;         Child Loop BB2_961 Depth 4
                                        ;           Child Loop BB2_962 Depth 5
                                        ;         Child Loop BB2_973 Depth 4
                                        ;         Child Loop BB2_979 Depth 4
                                        ;           Child Loop BB2_980 Depth 5
                                        ;         Child Loop BB2_994 Depth 4
                                        ;         Child Loop BB2_1000 Depth 4
	;; [unrolled: 1-line block ×6, first 2 shown]
                                        ;       Child Loop BB2_1075 Depth 3
                                        ;         Child Loop BB2_1081 Depth 4
                                        ;         Child Loop BB2_1111 Depth 4
	;; [unrolled: 1-line block ×3, first 2 shown]
	s_delay_alu instid0(SALU_CYCLE_1)
	s_mov_b32 s28, s13
	s_sub_i32 s13, s19, s13
	v_mov_b32_e32 v54, 0
	s_cmp_le_i32 s23, s13
	s_mov_b32 s31, 0
	s_cselect_b32 s14, s23, 0
	s_delay_alu instid0(SALU_CYCLE_1) | instskip(NEXT) | instid1(SALU_CYCLE_1)
	s_sub_i32 s13, s13, s14
	s_ashr_i32 s14, s13, 31
	v_mul_lo_u32 v2, v39, s13
	v_mad_u64_u32 v[8:9], null, v38, s13, 0
	v_mul_lo_u32 v10, v38, s14
	s_delay_alu instid0(VALU_DEP_1) | instskip(NEXT) | instid1(VALU_DEP_3)
	v_add3_u32 v9, v9, v10, v2
	v_sub_co_u32 v10, vcc_lo, v48, v8
	s_delay_alu instid0(VALU_DEP_2) | instskip(NEXT) | instid1(VALU_DEP_1)
	v_sub_co_ci_u32_e32 v11, vcc_lo, v49, v9, vcc_lo
	v_cmp_lt_i64_e32 vcc_lo, v[38:39], v[10:11]
	v_cndmask_b32_e32 v10, v10, v38, vcc_lo
	s_delay_alu instid0(VALU_DEP_1) | instskip(SKIP_1) | instid1(VALU_DEP_2)
	v_max_i32_e32 v53, 0, v10
	v_cmp_lt_i32_e32 vcc_lo, 0, v10
	v_add_nc_u32_e32 v2, 31, v53
	s_and_b32 s13, s27, vcc_lo
	s_delay_alu instid0(VALU_DEP_1) | instskip(NEXT) | instid1(VALU_DEP_1)
	v_lshrrev_b32_e32 v2, 1, v2
	v_dual_mov_b32 v2, 0 :: v_dual_and_b32 v11, 0x3ffffff0, v2
	s_delay_alu instid0(VALU_DEP_1)
	v_max_i32_e32 v50, s25, v11
	s_and_saveexec_b32 s30, s13
	s_cbranch_execz .LBB2_1073
; %bb.865:                              ;   in Loop: Header=BB2_864 Depth=2
	v_add_co_u32 v55, vcc_lo, v8, v116
	v_add_co_ci_u32_e32 v64, vcc_lo, v9, v117, vcc_lo
	v_mov_b32_e32 v54, 0
	s_mov_b32 s35, 1
	s_mov_b32 s34, -1
.LBB2_866:                              ;   Parent Loop BB2_51 Depth=1
                                        ;     Parent Loop BB2_864 Depth=2
                                        ; =>    This Loop Header: Depth=3
                                        ;         Child Loop BB2_875 Depth 4
                                        ;         Child Loop BB2_905 Depth 4
	;; [unrolled: 1-line block ×4, first 2 shown]
                                        ;           Child Loop BB2_954 Depth 5
                                        ;         Child Loop BB2_961 Depth 4
                                        ;           Child Loop BB2_962 Depth 5
                                        ;         Child Loop BB2_973 Depth 4
                                        ;         Child Loop BB2_979 Depth 4
                                        ;           Child Loop BB2_980 Depth 5
                                        ;         Child Loop BB2_994 Depth 4
                                        ;         Child Loop BB2_1000 Depth 4
	;; [unrolled: 1-line block ×6, first 2 shown]
	s_and_saveexec_b32 s14, s0
	s_cbranch_execz .LBB2_869
; %bb.867:                              ;   in Loop: Header=BB2_866 Depth=3
	s_cbranch_execnz .LBB2_1560
; %bb.868:                              ;   in Loop: Header=BB2_866 Depth=3
	ds_load_b128 v[8:11], v0
	v_ashrrev_i32_e32 v2, 31, v54
	s_waitcnt lgkmcnt(0)
	v_add_co_u32 v51, vcc_lo, v10, v55
	v_add_co_ci_u32_e32 v52, vcc_lo, v11, v64, vcc_lo
	v_add_co_u32 v8, vcc_lo, v8, v55
	v_add_co_ci_u32_e32 v9, vcc_lo, v9, v64, vcc_lo
	s_delay_alu instid0(VALU_DEP_4) | instskip(NEXT) | instid1(VALU_DEP_4)
	v_add_co_u32 v51, vcc_lo, v51, v54
	v_add_co_ci_u32_e32 v52, vcc_lo, v52, v2, vcc_lo
	v_cmp_ne_u64_e32 vcc_lo, 0, v[10:11]
	v_add_co_u32 v8, s13, v8, v54
	s_delay_alu instid0(VALU_DEP_1) | instskip(NEXT) | instid1(VALU_DEP_4)
	v_add_co_ci_u32_e64 v9, s13, v9, v2, s13
	v_dual_cndmask_b32 v11, 0, v52 :: v_dual_cndmask_b32 v10, 0, v51
	ds_store_b64 v0, v[8:9]
	ds_store_b64 v0, v[10:11]
.LBB2_869:                              ;   in Loop: Header=BB2_866 Depth=3
	s_or_b32 exec_lo, exec_lo, s14
	v_and_b32_e32 v2, 12, v30
	s_mov_b32 s14, -1
	s_mov_b32 s13, exec_lo
	s_delay_alu instid0(VALU_DEP_1)
	v_cmpx_ne_u32_e32 0, v2
	s_cbranch_execz .LBB2_883
; %bb.870:                              ;   in Loop: Header=BB2_866 Depth=3
	v_and_b32_e32 v2, 8, v30
	s_delay_alu instid0(VALU_DEP_1) | instskip(SKIP_3) | instid1(VALU_DEP_1)
	v_add_co_u32 v10, vcc_lo, v28, v2
	v_add_co_ci_u32_e32 v11, vcc_lo, 0, v29, vcc_lo
	v_add_co_u32 v8, vcc_lo, v22, 2
	v_add_co_ci_u32_e32 v9, vcc_lo, 0, v23, vcc_lo
	v_cmp_lt_u64_e32 vcc_lo, v[10:11], v[8:9]
	v_mov_b32_e32 v10, 1
	s_and_saveexec_b32 s14, vcc_lo
	s_cbranch_execz .LBB2_882
; %bb.871:                              ;   in Loop: Header=BB2_866 Depth=3
	v_mov_b32_e32 v10, 0
	s_mov_b32 s15, 0
                                        ; implicit-def: $sgpr16
	s_branch .LBB2_875
.LBB2_872:                              ;   in Loop: Header=BB2_875 Depth=4
	s_or_b32 exec_lo, exec_lo, s38
	v_mov_b32_e32 v11, 0
	s_or_not1_b32 s37, s37, exec_lo
.LBB2_873:                              ;   in Loop: Header=BB2_875 Depth=4
	s_or_b32 exec_lo, exec_lo, s36
	s_delay_alu instid0(VALU_DEP_1) | instskip(SKIP_2) | instid1(SALU_CYCLE_1)
	v_mov_b32_e32 v10, v11
	s_and_not1_b32 s16, s16, exec_lo
	s_and_b32 vcc_lo, s37, exec_lo
	s_or_b32 s16, s16, vcc_lo
.LBB2_874:                              ;   in Loop: Header=BB2_875 Depth=4
	s_or_b32 exec_lo, exec_lo, s17
	s_waitcnt vmcnt(0) lgkmcnt(0)
	v_add_co_u32 v51, vcc_lo, v28, v2
	v_add_co_ci_u32_e32 v52, vcc_lo, 0, v29, vcc_lo
	s_xor_b32 s17, s16, -1
	s_delay_alu instid0(VALU_DEP_1) | instskip(SKIP_1) | instid1(SALU_CYCLE_1)
	v_cmp_ge_u64_e32 vcc_lo, v[51:52], v[8:9]
	s_or_b32 s17, s17, vcc_lo
	s_and_b32 s17, exec_lo, s17
	s_delay_alu instid0(SALU_CYCLE_1) | instskip(NEXT) | instid1(SALU_CYCLE_1)
	s_or_b32 s15, s17, s15
	s_and_not1_b32 exec_lo, exec_lo, s15
	s_cbranch_execz .LBB2_881
.LBB2_875:                              ;   Parent Loop BB2_51 Depth=1
                                        ;     Parent Loop BB2_864 Depth=2
                                        ;       Parent Loop BB2_866 Depth=3
                                        ; =>      This Inner Loop Header: Depth=4
	s_sleep 1
	flat_load_b64 v[28:29], v[20:21] glc
	v_and_b32_e32 v11, 64, v30
	s_and_not1_b32 s16, s16, exec_lo
	s_mov_b32 s17, exec_lo
	s_delay_alu instid0(VALU_DEP_1)
	v_cmpx_eq_u32_e32 0, v11
	s_cbranch_execz .LBB2_874
; %bb.876:                              ;   in Loop: Header=BB2_875 Depth=4
	v_add_nc_u32_e32 v11, 1, v10
	s_mov_b32 s37, -1
	s_mov_b32 s36, exec_lo
	v_cmpx_lt_i32_e32 0x270e, v10
	s_cbranch_execz .LBB2_873
; %bb.877:                              ;   in Loop: Header=BB2_875 Depth=4
	s_cbranch_execnz .LBB2_1598
; %bb.878:                              ;   in Loop: Header=BB2_875 Depth=4
	ds_load_b64 v[10:11], v0
	s_mov_b32 s38, exec_lo
	s_waitcnt vmcnt(0) lgkmcnt(0)
	s_waitcnt_vscnt null, 0x0
	flat_load_b32 v10, v[10:11] glc
	s_waitcnt vmcnt(0) lgkmcnt(0)
	buffer_gl1_inv
	buffer_gl0_inv
	v_cmpx_ne_u32_e32 0, v10
	s_cbranch_execz .LBB2_872
; %bb.879:                              ;   in Loop: Header=BB2_875 Depth=4
	ds_store_b32 v0, v10
	s_cbranch_execnz .LBB2_1680
; %bb.880:                              ;   in Loop: Header=BB2_875 Depth=4
	v_or_b32_e32 v30, 64, v30
	s_xor_b32 s37, exec_lo, -1
	s_branch .LBB2_872
.LBB2_881:                              ;   in Loop: Header=BB2_866 Depth=3
	s_or_b32 exec_lo, exec_lo, s15
	v_and_b32_e32 v10, 12, v30
.LBB2_882:                              ;   in Loop: Header=BB2_866 Depth=3
	s_or_b32 exec_lo, exec_lo, s14
	s_delay_alu instid0(VALU_DEP_1)
	v_cmp_eq_u32_e32 vcc_lo, 0, v10
	;;#ASMSTART
	s_wakeup
	;;#ASMEND
	s_or_not1_b32 s14, vcc_lo, exec_lo
.LBB2_883:                              ;   in Loop: Header=BB2_866 Depth=3
	s_or_b32 exec_lo, exec_lo, s13
	v_sub_nc_u32_e32 v2, v53, v54
	s_xor_b32 s13, s14, -1
	s_delay_alu instid0(VALU_DEP_1)
	v_min_i32_e32 v50, v50, v2
	s_and_saveexec_b32 s14, s13
	s_cbranch_execz .LBB2_896
; %bb.884:                              ;   in Loop: Header=BB2_866 Depth=3
	v_and_b32_e32 v2, 0x108, v30
	s_delay_alu instid0(VALU_DEP_1) | instskip(SKIP_2) | instid1(SALU_CYCLE_1)
	v_cmp_ne_u32_e32 vcc_lo, 0x108, v2
	v_and_b32_e32 v2, 7, v22
	s_and_saveexec_b32 s13, vcc_lo
	s_xor_b32 s13, exec_lo, s13
	s_delay_alu instid0(SALU_CYCLE_1)
	s_and_not1_saveexec_b32 s13, s13
	s_cbranch_execz .LBB2_886
; %bb.885:                              ;   in Loop: Header=BB2_866 Depth=3
	v_mad_u64_u32 v[8:9], null, v2, 24, v[6:7]
	v_ashrrev_i32_e32 v51, 31, v50
	flat_store_b64 v[8:9], v[50:51] offset:8
.LBB2_886:                              ;   in Loop: Header=BB2_866 Depth=3
	s_or_b32 exec_lo, exec_lo, s13
	v_and_b32_e32 v8, 0x100, v30
	s_mov_b32 s13, -1
	s_delay_alu instid0(VALU_DEP_1)
	v_cmp_ne_u32_e32 vcc_lo, 0, v8
                                        ; implicit-def: $vgpr8_vgpr9
	s_and_saveexec_b32 s15, vcc_lo
	s_cbranch_execnz .LBB2_889
; %bb.887:                              ;   in Loop: Header=BB2_866 Depth=3
	s_or_b32 exec_lo, exec_lo, s15
	s_and_saveexec_b32 s15, s13
	s_cbranch_execnz .LBB2_892
.LBB2_888:                              ;   in Loop: Header=BB2_866 Depth=3
	s_or_b32 exec_lo, exec_lo, s15
	s_cbranch_execnz .LBB2_1588
	s_branch .LBB2_893
.LBB2_889:                              ;   in Loop: Header=BB2_866 Depth=3
	v_mad_u64_u32 v[10:11], null, v2, 24, v[6:7]
	s_delay_alu instid0(VALU_DEP_1) | instskip(NEXT) | instid1(VALU_DEP_1)
	v_mov_b32_e32 v8, v11
	v_mad_u64_u32 v[51:52], null, v3, 24, v[8:9]
	s_delay_alu instid0(VALU_DEP_1) | instskip(SKIP_4) | instid1(VALU_DEP_1)
	v_mov_b32_e32 v11, v51
	flat_load_b32 v8, v[10:11]
	s_waitcnt vmcnt(0) lgkmcnt(0)
	v_cmp_ne_u32_e32 vcc_lo, 1, v8
	v_cmp_eq_u32_e64 s13, 1, v8
                                        ; implicit-def: $vgpr8_vgpr9
	s_and_saveexec_b32 s16, s13
	s_cbranch_execz .LBB2_891
; %bb.890:                              ;   in Loop: Header=BB2_866 Depth=3
	flat_load_b32 v8, v[10:11] offset:4 glc
	s_waitcnt vmcnt(0) lgkmcnt(0)
	v_ashrrev_i32_e32 v9, 31, v8
.LBB2_891:                              ;   in Loop: Header=BB2_866 Depth=3
	s_or_b32 exec_lo, exec_lo, s16
	s_delay_alu instid0(SALU_CYCLE_1)
	s_or_not1_b32 s13, vcc_lo, exec_lo
	s_or_b32 exec_lo, exec_lo, s15
	s_and_saveexec_b32 s15, s13
	s_cbranch_execz .LBB2_888
.LBB2_892:                              ;   in Loop: Header=BB2_866 Depth=3
	v_mul_lo_u32 v10, v3, v68
	v_mul_lo_u32 v11, v2, v70
	v_mad_u64_u32 v[8:9], null, v2, v68, 0
	s_delay_alu instid0(VALU_DEP_1)
	v_add3_u32 v9, v9, v11, v10
	s_or_b32 exec_lo, exec_lo, s15
	s_cbranch_execnz .LBB2_1588
.LBB2_893:                              ;   in Loop: Header=BB2_866 Depth=3
	s_delay_alu instid0(VALU_DEP_2)
	v_add_co_u32 v8, vcc_lo, v24, v8
	v_and_b32_e32 v2, 0x2000, v30
	v_add_co_ci_u32_e32 v9, vcc_lo, v25, v9, vcc_lo
	s_mov_b32 s13, exec_lo
	ds_store_b64 v0, v[8:9]
	v_cmpx_ne_u32_e32 0, v2
	s_cbranch_execz .LBB2_895
; %bb.894:                              ;   in Loop: Header=BB2_866 Depth=3
	ds_load_b64 v[8:9], v0 offset:584
	s_waitcnt lgkmcnt(0)
	v_add_co_u32 v8, vcc_lo, v8, 1
	v_add_co_ci_u32_e32 v9, vcc_lo, 0, v9, vcc_lo
	ds_store_b64 v0, v[8:9] offset:584
.LBB2_895:                              ;   in Loop: Header=BB2_866 Depth=3
	s_or_b32 exec_lo, exec_lo, s13
	v_add_co_u32 v22, vcc_lo, v22, 2
	v_add_co_ci_u32_e32 v23, vcc_lo, 0, v23, vcc_lo
.LBB2_896:                              ;   in Loop: Header=BB2_866 Depth=3
	s_or_b32 exec_lo, exec_lo, s14
	s_and_saveexec_b32 s13, s3
	s_cbranch_execz .LBB2_918
; %bb.897:                              ;   in Loop: Header=BB2_866 Depth=3
	s_and_saveexec_b32 s14, s4
	s_delay_alu instid0(SALU_CYCLE_1)
	s_xor_b32 s14, exec_lo, s14
	s_cbranch_execz .LBB2_915
; %bb.898:                              ;   in Loop: Header=BB2_866 Depth=3
	s_and_saveexec_b32 s15, s1
	s_cbranch_execz .LBB2_914
; %bb.899:                              ;   in Loop: Header=BB2_866 Depth=3
	s_mov_b32 s17, exec_lo
	s_mov_b32 s16, exec_lo
	v_mbcnt_lo_u32_b32 v2, s17, 0
	s_waitcnt lgkmcnt(0)
	s_waitcnt_vscnt null, 0x0
	buffer_gl1_inv
	buffer_gl0_inv
	v_cmpx_eq_u32_e32 0, v2
	s_cbranch_execz .LBB2_901
; %bb.900:                              ;   in Loop: Header=BB2_866 Depth=3
	s_bcnt1_i32_b32 s17, s17
	s_delay_alu instid0(SALU_CYCLE_1)
	v_mov_b32_e32 v2, s17
	ds_add_u64 v0, v[2:3]
	s_cbranch_execnz .LBB2_1736
.LBB2_901:                              ;   in Loop: Header=BB2_866 Depth=3
	s_or_b32 exec_lo, exec_lo, s16
	s_cbranch_execnz .LBB2_1708
; %bb.902:                              ;   in Loop: Header=BB2_866 Depth=3
	ds_load_b64 v[8:9], v0
	v_add_co_u32 v12, vcc_lo, v12, v71
	v_add_co_ci_u32_e32 v13, vcc_lo, 0, v13, vcc_lo
	s_mov_b32 s16, exec_lo
	s_waitcnt lgkmcnt(0)
	s_delay_alu instid0(VALU_DEP_1)
	v_cmpx_lt_u64_e64 v[8:9], v[12:13]
	s_cbranch_execz .LBB2_913
; %bb.903:                              ;   in Loop: Header=BB2_866 Depth=3
	s_mov_b32 s17, 0
	s_mov_b32 s38, 0
                                        ; implicit-def: $sgpr36
                                        ; implicit-def: $sgpr37
	s_branch .LBB2_905
.LBB2_904:                              ;   in Loop: Header=BB2_905 Depth=4
	s_or_b32 exec_lo, exec_lo, s40
	s_delay_alu instid0(SALU_CYCLE_1) | instskip(NEXT) | instid1(SALU_CYCLE_1)
	s_and_b32 vcc_lo, exec_lo, vcc_lo
	s_or_b32 s17, vcc_lo, s17
	s_and_not1_b32 vcc_lo, s36, exec_lo
	s_and_b32 s36, s37, exec_lo
	s_delay_alu instid0(SALU_CYCLE_1)
	s_or_b32 s36, vcc_lo, s36
	s_and_not1_b32 exec_lo, exec_lo, s17
	s_cbranch_execz .LBB2_911
.LBB2_905:                              ;   Parent Loop BB2_51 Depth=1
                                        ;     Parent Loop BB2_864 Depth=2
                                        ;       Parent Loop BB2_866 Depth=3
                                        ; =>      This Inner Loop Header: Depth=4
	s_add_i32 s38, s38, 1
                                        ; implicit-def: $sgpr40
	s_delay_alu instid0(SALU_CYCLE_1) | instskip(SKIP_1) | instid1(SALU_CYCLE_1)
	s_cmpk_lg_i32 s38, 0x2710
	s_cselect_b32 s39, -1, 0
	s_and_b32 vcc_lo, exec_lo, s39
	s_cbranch_vccz .LBB2_909
.LBB2_906:                              ;   in Loop: Header=BB2_905 Depth=4
	s_and_not1_b32 s37, s37, exec_lo
	s_and_b32 s40, s40, exec_lo
	s_mov_b32 vcc_lo, -1
	s_or_b32 s37, s37, s40
	s_and_saveexec_b32 s40, s39
	s_cbranch_execz .LBB2_904
; %bb.907:                              ;   in Loop: Header=BB2_905 Depth=4
	s_sleep 1
	s_cbranch_execnz .LBB2_1788
; %bb.908:                              ;   in Loop: Header=BB2_905 Depth=4
	ds_load_b64 v[8:9], v0
	s_and_not1_b32 s37, s37, exec_lo
	s_waitcnt lgkmcnt(0)
	v_cmp_ge_u64_e32 vcc_lo, v[8:9], v[12:13]
	s_or_not1_b32 vcc_lo, vcc_lo, exec_lo
	s_branch .LBB2_904
.LBB2_909:                              ;   in Loop: Header=BB2_905 Depth=4
	s_cbranch_execnz .LBB2_1806
; %bb.910:                              ;   in Loop: Header=BB2_905 Depth=4
	ds_load_b64 v[8:9], v0
	s_and_not1_b32 s39, s39, exec_lo
	s_mov_b32 s38, 0
	s_mov_b32 s40, -1
	s_waitcnt lgkmcnt(0)
	flat_load_b32 v2, v[8:9] glc
	s_waitcnt vmcnt(0) lgkmcnt(0)
	buffer_gl1_inv
	buffer_gl0_inv
	v_cmp_eq_u32_e32 vcc_lo, 0, v2
	s_and_b32 vcc_lo, vcc_lo, exec_lo
	s_delay_alu instid0(SALU_CYCLE_1)
	s_or_b32 s39, s39, vcc_lo
	s_branch .LBB2_906
.LBB2_911:                              ;   in Loop: Header=BB2_866 Depth=3
	s_or_b32 exec_lo, exec_lo, s17
	s_and_saveexec_b32 s17, s36
	s_delay_alu instid0(SALU_CYCLE_1)
	s_xor_b32 s17, exec_lo, s17
	s_cbranch_execz .LBB2_913
; %bb.912:                              ;   in Loop: Header=BB2_866 Depth=3
	ds_store_b32 v0, v115
	s_cbranch_execnz .LBB2_1920
.LBB2_913:                              ;   in Loop: Header=BB2_866 Depth=3
	s_or_b32 exec_lo, exec_lo, s16
	;;#ASMSTART
	s_wakeup
	;;#ASMEND
.LBB2_914:                              ;   in Loop: Header=BB2_866 Depth=3
	s_or_b32 exec_lo, exec_lo, s15
.LBB2_915:                              ;   in Loop: Header=BB2_866 Depth=3
	s_and_not1_saveexec_b32 s14, s14
	s_cbranch_execz .LBB2_917
; %bb.916:                              ;   in Loop: Header=BB2_866 Depth=3
	s_waitcnt lgkmcnt(0)
	s_waitcnt_vscnt null, 0x0
	buffer_gl1_inv
	buffer_gl0_inv
	s_barrier
.LBB2_917:                              ;   in Loop: Header=BB2_866 Depth=3
	s_or_b32 exec_lo, exec_lo, s14
.LBB2_918:                              ;   in Loop: Header=BB2_866 Depth=3
	s_delay_alu instid0(SALU_CYCLE_1)
	s_or_b32 exec_lo, exec_lo, s13
	s_cbranch_execnz .LBB2_1572
; %bb.919:                              ;   in Loop: Header=BB2_866 Depth=3
	ds_load_b32 v8, v0
	v_and_b32_e32 v2, 0x4000, v30
	s_xor_b32 s13, s2, -1
	s_delay_alu instid0(VALU_DEP_1) | instskip(SKIP_1) | instid1(SALU_CYCLE_1)
	v_cmp_ne_u32_e32 vcc_lo, 0, v2
	s_and_b32 s14, s13, vcc_lo
	s_and_saveexec_b32 s13, s14
	s_cbranch_execz .LBB2_941
; %bb.920:                              ;   in Loop: Header=BB2_866 Depth=3
	s_and_saveexec_b32 s14, s4
	s_delay_alu instid0(SALU_CYCLE_1)
	s_xor_b32 s14, exec_lo, s14
	s_cbranch_execz .LBB2_938
; %bb.921:                              ;   in Loop: Header=BB2_866 Depth=3
	s_and_saveexec_b32 s15, s1
	s_cbranch_execz .LBB2_937
; %bb.922:                              ;   in Loop: Header=BB2_866 Depth=3
	s_mov_b32 s17, exec_lo
	s_mov_b32 s16, exec_lo
	v_mbcnt_lo_u32_b32 v2, s17, 0
	s_waitcnt lgkmcnt(0)
	s_waitcnt_vscnt null, 0x0
	buffer_gl1_inv
	buffer_gl0_inv
	v_cmpx_eq_u32_e32 0, v2
	s_cbranch_execz .LBB2_924
; %bb.923:                              ;   in Loop: Header=BB2_866 Depth=3
	s_bcnt1_i32_b32 s17, s17
	s_delay_alu instid0(SALU_CYCLE_1)
	v_mov_b32_e32 v2, s17
	ds_add_u64 v0, v[2:3]
	s_cbranch_execnz .LBB2_1778
.LBB2_924:                              ;   in Loop: Header=BB2_866 Depth=3
	s_or_b32 exec_lo, exec_lo, s16
	s_cbranch_execnz .LBB2_1758
; %bb.925:                              ;   in Loop: Header=BB2_866 Depth=3
	ds_load_b64 v[9:10], v0
	v_add_co_u32 v12, vcc_lo, v12, v71
	v_add_co_ci_u32_e32 v13, vcc_lo, 0, v13, vcc_lo
	s_mov_b32 s16, exec_lo
	s_waitcnt lgkmcnt(0)
	s_delay_alu instid0(VALU_DEP_1)
	v_cmpx_lt_u64_e64 v[9:10], v[12:13]
	s_cbranch_execz .LBB2_936
; %bb.926:                              ;   in Loop: Header=BB2_866 Depth=3
	s_mov_b32 s17, 0
	s_mov_b32 s38, 0
                                        ; implicit-def: $sgpr36
                                        ; implicit-def: $sgpr37
	s_branch .LBB2_928
.LBB2_927:                              ;   in Loop: Header=BB2_928 Depth=4
	s_or_b32 exec_lo, exec_lo, s40
	s_delay_alu instid0(SALU_CYCLE_1) | instskip(NEXT) | instid1(SALU_CYCLE_1)
	s_and_b32 vcc_lo, exec_lo, vcc_lo
	s_or_b32 s17, vcc_lo, s17
	s_and_not1_b32 vcc_lo, s36, exec_lo
	s_and_b32 s36, s37, exec_lo
	s_delay_alu instid0(SALU_CYCLE_1)
	s_or_b32 s36, vcc_lo, s36
	s_and_not1_b32 exec_lo, exec_lo, s17
	s_cbranch_execz .LBB2_934
.LBB2_928:                              ;   Parent Loop BB2_51 Depth=1
                                        ;     Parent Loop BB2_864 Depth=2
                                        ;       Parent Loop BB2_866 Depth=3
                                        ; =>      This Inner Loop Header: Depth=4
	s_add_i32 s38, s38, 1
                                        ; implicit-def: $sgpr40
	s_delay_alu instid0(SALU_CYCLE_1) | instskip(SKIP_1) | instid1(SALU_CYCLE_1)
	s_cmpk_lg_i32 s38, 0x2710
	s_cselect_b32 s39, -1, 0
	s_and_b32 vcc_lo, exec_lo, s39
	s_cbranch_vccz .LBB2_932
.LBB2_929:                              ;   in Loop: Header=BB2_928 Depth=4
	s_and_not1_b32 s37, s37, exec_lo
	s_and_b32 s40, s40, exec_lo
	s_mov_b32 vcc_lo, -1
	s_or_b32 s37, s37, s40
	s_and_saveexec_b32 s40, s39
	s_cbranch_execz .LBB2_927
; %bb.930:                              ;   in Loop: Header=BB2_928 Depth=4
	s_sleep 1
	s_cbranch_execnz .LBB2_1842
; %bb.931:                              ;   in Loop: Header=BB2_928 Depth=4
	ds_load_b64 v[9:10], v0
	s_and_not1_b32 s37, s37, exec_lo
	s_waitcnt lgkmcnt(0)
	v_cmp_ge_u64_e32 vcc_lo, v[9:10], v[12:13]
	s_or_not1_b32 vcc_lo, vcc_lo, exec_lo
	s_branch .LBB2_927
.LBB2_932:                              ;   in Loop: Header=BB2_928 Depth=4
	s_cbranch_execnz .LBB2_1850
; %bb.933:                              ;   in Loop: Header=BB2_928 Depth=4
	ds_load_b64 v[9:10], v0
	s_and_not1_b32 s39, s39, exec_lo
	s_mov_b32 s38, 0
	s_mov_b32 s40, -1
	s_waitcnt lgkmcnt(0)
	flat_load_b32 v2, v[9:10] glc
	s_waitcnt vmcnt(0) lgkmcnt(0)
	buffer_gl1_inv
	buffer_gl0_inv
	v_cmp_eq_u32_e32 vcc_lo, 0, v2
	s_and_b32 vcc_lo, vcc_lo, exec_lo
	s_delay_alu instid0(SALU_CYCLE_1)
	s_or_b32 s39, s39, vcc_lo
	s_branch .LBB2_929
.LBB2_934:                              ;   in Loop: Header=BB2_866 Depth=3
	s_or_b32 exec_lo, exec_lo, s17
	s_and_saveexec_b32 s17, s36
	s_delay_alu instid0(SALU_CYCLE_1)
	s_xor_b32 s17, exec_lo, s17
	s_cbranch_execz .LBB2_936
; %bb.935:                              ;   in Loop: Header=BB2_866 Depth=3
	ds_store_b32 v0, v115
	s_cbranch_execnz .LBB2_1934
.LBB2_936:                              ;   in Loop: Header=BB2_866 Depth=3
	s_or_b32 exec_lo, exec_lo, s16
	;;#ASMSTART
	s_wakeup
	;;#ASMEND
.LBB2_937:                              ;   in Loop: Header=BB2_866 Depth=3
	s_or_b32 exec_lo, exec_lo, s15
.LBB2_938:                              ;   in Loop: Header=BB2_866 Depth=3
	s_and_not1_saveexec_b32 s14, s14
	s_cbranch_execz .LBB2_940
; %bb.939:                              ;   in Loop: Header=BB2_866 Depth=3
	s_waitcnt lgkmcnt(0)
	s_waitcnt_vscnt null, 0x0
	buffer_gl1_inv
	buffer_gl0_inv
	s_barrier
.LBB2_940:                              ;   in Loop: Header=BB2_866 Depth=3
	s_or_b32 exec_lo, exec_lo, s14
.LBB2_941:                              ;   in Loop: Header=BB2_866 Depth=3
	s_delay_alu instid0(SALU_CYCLE_1)
	s_or_b32 exec_lo, exec_lo, s13
	s_cbranch_execnz .LBB2_1628
; %bb.942:                              ;   in Loop: Header=BB2_866 Depth=3
	ds_load_b64 v[9:10], v0
	v_mov_b32_e32 v65, 0
	s_waitcnt lgkmcnt(0)
	v_cmp_eq_u64_e32 vcc_lo, 0, v[9:10]
	s_or_b32 s13, vcc_lo, vcc_lo
	s_delay_alu instid0(SALU_CYCLE_1)
	s_and_b32 vcc_lo, exec_lo, s13
	s_cbranch_vccnz .LBB2_1019
; %bb.943:                              ;   in Loop: Header=BB2_866 Depth=3
	v_cmp_eq_u32_e32 vcc_lo, 0, v8
	s_cbranch_execnz .LBB2_1702
; %bb.944:                              ;   in Loop: Header=BB2_866 Depth=3
	ds_load_b64 v[8:9], v0
	v_cndmask_b32_e32 v65, 0, v50, vcc_lo
	s_waitcnt lgkmcnt(0)
	v_cmp_ne_u64_e64 s13, 0, v[8:9]
	s_delay_alu instid0(VALU_DEP_1)
	s_and_b32 vcc_lo, exec_lo, s13
	s_cbranch_vccz .LBB2_984
; %bb.945:                              ;   in Loop: Header=BB2_866 Depth=3
	s_mov_b32 s13, -1
	s_and_saveexec_b32 s14, s6
	s_cbranch_execz .LBB2_947
; %bb.946:                              ;   in Loop: Header=BB2_866 Depth=3
	ds_load_b32 v2, v0 offset:720
	s_waitcnt lgkmcnt(0)
	v_and_b32_e32 v2, 15, v2
	s_delay_alu instid0(VALU_DEP_1)
	v_cmp_eq_u32_e32 vcc_lo, 0, v2
	s_or_not1_b32 s13, vcc_lo, exec_lo
.LBB2_947:                              ;   in Loop: Header=BB2_866 Depth=3
	s_or_b32 exec_lo, exec_lo, s14
	s_and_saveexec_b32 s14, s12
	s_cbranch_execz .LBB2_949
; %bb.948:                              ;   in Loop: Header=BB2_866 Depth=3
	ds_load_b32 v2, v0 offset:784
	s_waitcnt lgkmcnt(0)
	v_and_b32_e32 v2, 15, v2
	s_delay_alu instid0(VALU_DEP_1) | instskip(SKIP_3) | instid1(SALU_CYCLE_1)
	v_cmp_eq_u32_e32 vcc_lo, 0, v2
	s_and_b32 s15, s13, vcc_lo
	s_and_not1_b32 s13, s13, exec_lo
	s_and_b32 s15, s15, exec_lo
	s_or_b32 s13, s13, s15
.LBB2_949:                              ;   in Loop: Header=BB2_866 Depth=3
	s_or_b32 exec_lo, exec_lo, s14
	s_xor_b32 s13, s13, -1
	v_mov_b32_e32 v66, v65
	v_cndmask_b32_e64 v2, 0, 1, s13
	;;#ASMSTART
	;;#ASMEND
	s_delay_alu instid0(VALU_DEP_1)
	v_cmp_ne_u32_e32 vcc_lo, 0, v2
	v_dual_mov_b32 v2, 0 :: v_dual_mov_b32 v67, v0
	v_mov_b32_e32 v8, v80
	s_mov_b32 s14, -1
	s_cbranch_vccnz .LBB2_969
; %bb.950:                              ;   in Loop: Header=BB2_866 Depth=3
	v_ashrrev_i32_e32 v2, 31, v65
	s_mov_b32 s16, exec_lo
	s_delay_alu instid0(VALU_DEP_1) | instskip(NEXT) | instid1(VALU_DEP_1)
	v_lshrrev_b32_e32 v2, 23, v2
	v_add_nc_u32_e32 v2, v65, v2
	s_delay_alu instid0(VALU_DEP_1) | instskip(SKIP_2) | instid1(VALU_DEP_3)
	v_and_b32_e32 v118, 0xfffffe00, v2
	v_ashrrev_i32_e32 v8, 9, v2
	v_sub_nc_u32_e32 v2, v65, v112
	v_sub_nc_u32_e32 v128, v65, v118
	s_delay_alu instid0(VALU_DEP_1) | instskip(NEXT) | instid1(VALU_DEP_1)
	v_cmp_lt_i32_e64 s13, 15, v128
	v_add_co_ci_u32_e64 v129, vcc_lo, v8, v113, s13
	s_delay_alu instid0(VALU_DEP_4)
	v_cmpx_lt_i32_e32 15, v2
	s_cbranch_execz .LBB2_957
; %bb.951:                              ;   in Loop: Header=BB2_866 Depth=3
	s_cbranch_execnz .LBB2_1864
; %bb.952:                              ;   in Loop: Header=BB2_866 Depth=3
	ds_load_b64 v[51:52], v0
	ds_load_b128 v[8:11], v0
	s_mov_b32 s17, 0
	s_waitcnt lgkmcnt(1)
	v_add_co_u32 v51, vcc_lo, v51, v112
	v_add_co_ci_u32_e32 v52, vcc_lo, v52, v114, vcc_lo
	s_waitcnt lgkmcnt(0)
	v_add_co_u32 v66, vcc_lo, v8, v112
	v_add_co_ci_u32_e32 v67, vcc_lo, v9, v114, vcc_lo
	v_add_co_u32 v119, vcc_lo, v10, v112
	v_add_co_ci_u32_e32 v130, vcc_lo, v11, v114, vcc_lo
.LBB2_953:                              ;   Parent Loop BB2_51 Depth=1
                                        ;     Parent Loop BB2_864 Depth=2
                                        ;       Parent Loop BB2_866 Depth=3
                                        ; =>      This Loop Header: Depth=4
                                        ;           Child Loop BB2_954 Depth 5
	global_load_b128 v[8:11], v[51:52], off slc dlc
	s_mov_b64 s[14:15], 0
	s_mov_b32 s36, -1
.LBB2_954:                              ;   Parent Loop BB2_51 Depth=1
                                        ;     Parent Loop BB2_864 Depth=2
                                        ;       Parent Loop BB2_866 Depth=3
                                        ;         Parent Loop BB2_953 Depth=4
                                        ; =>        This Inner Loop Header: Depth=5
	s_cmp_eq_u32 s14, 0
	v_cndmask_b32_e64 v133, 0, 1, s36
	s_cselect_b32 vcc_lo, -1, 0
	s_cmp_eq_u32 s14, 1
	s_mov_b32 s36, 0
	s_cselect_b32 s14, -1, 0
	s_delay_alu instid0(SALU_CYCLE_1) | instskip(SKIP_1) | instid1(VALU_DEP_2)
	v_cndmask_b32_e64 v131, v66, v119, s14
	v_cndmask_b32_e64 v132, v67, v130, s14
	v_add_co_u32 v134, s15, 0x200, v131
	s_delay_alu instid0(VALU_DEP_1) | instskip(SKIP_1) | instid1(VALU_DEP_3)
	v_add_co_ci_u32_e64 v135, s15, 0, v132, s15
	v_cmp_ne_u32_e64 s15, 1, v133
	v_cndmask_b32_e64 v119, v119, v134, s14
	v_cndmask_b32_e32 v66, v66, v134, vcc_lo
	s_delay_alu instid0(VALU_DEP_4)
	v_cndmask_b32_e64 v130, v130, v135, s14
	v_cndmask_b32_e32 v67, v67, v135, vcc_lo
	s_and_b32 vcc_lo, exec_lo, s15
	s_mov_b64 s[14:15], 1
	s_waitcnt vmcnt(0)
	global_store_b128 v[131:132], v[8:11], off glc slc dlc
	s_cbranch_vccz .LBB2_954
; %bb.955:                              ;   in Loop: Header=BB2_953 Depth=4
	v_add_co_u32 v66, vcc_lo, v66, v83
	v_sub_nc_u32_e32 v2, v2, v82
	v_add_co_ci_u32_e32 v67, vcc_lo, v67, v86, vcc_lo
	v_add_co_u32 v119, vcc_lo, v119, v83
	v_add_co_ci_u32_e32 v130, vcc_lo, v130, v86, vcc_lo
	s_delay_alu instid0(VALU_DEP_4) | instskip(SKIP_1) | instid1(VALU_DEP_1)
	v_cmp_gt_i32_e32 vcc_lo, 16, v2
	v_add_co_u32 v51, s14, v96, v51
	v_add_co_ci_u32_e64 v52, s14, v97, v52, s14
	v_sub_nc_u32_e32 v129, v129, v71
	s_or_b32 s17, vcc_lo, s17
	s_delay_alu instid0(SALU_CYCLE_1)
	s_and_not1_b32 exec_lo, exec_lo, s17
	s_cbranch_execnz .LBB2_953
; %bb.956:                              ;   in Loop: Header=BB2_866 Depth=3
	s_or_b32 exec_lo, exec_lo, s17
.LBB2_957:                              ;   in Loop: Header=BB2_866 Depth=3
	s_delay_alu instid0(SALU_CYCLE_1) | instskip(SKIP_3) | instid1(VALU_DEP_1)
	s_or_b32 exec_lo, exec_lo, s16
	v_dual_mov_b32 v2, 0 :: v_dual_and_b32 v9, 15, v65
	s_mov_b32 s14, 0
	s_mov_b32 s16, exec_lo
                                        ; implicit-def: $vgpr66
                                        ; implicit-def: $vgpr67
                                        ; implicit-def: $vgpr8
	v_cndmask_b32_e64 v119, v128, v9, s13
	s_delay_alu instid0(VALU_DEP_1)
	v_cmpx_ne_u32_e32 0, v119
	s_cbranch_execz .LBB2_968
; %bb.958:                              ;   in Loop: Header=BB2_866 Depth=3
	v_cmp_lt_i32_e32 vcc_lo, 0, v129
	v_ashrrev_i32_e32 v10, 31, v119
	v_sub_nc_u32_e32 v9, v128, v9
	s_mov_b32 s17, exec_lo
	v_cndmask_b32_e32 v2, 0, v71, vcc_lo
	s_delay_alu instid0(VALU_DEP_3) | instskip(NEXT) | instid1(VALU_DEP_3)
	v_lshrrev_b32_e32 v10, 23, v10
	v_cndmask_b32_e64 v9, 0, v9, s13
	s_delay_alu instid0(VALU_DEP_3) | instskip(NEXT) | instid1(VALU_DEP_3)
	v_sub_nc_u32_e32 v2, v2, v129
	v_add_nc_u32_e32 v10, v119, v10
	s_delay_alu instid0(VALU_DEP_3) | instskip(NEXT) | instid1(VALU_DEP_3)
	v_add_nc_u32_e32 v118, v9, v118
	v_lshl_add_u32 v2, v2, 5, v81
	s_delay_alu instid0(VALU_DEP_3) | instskip(SKIP_1) | instid1(VALU_DEP_3)
	v_and_b32_e32 v129, 0xfffffe00, v10
	v_ashrrev_i32_e32 v10, 9, v10
	v_ashrrev_i32_e32 v8, 31, v2
	s_delay_alu instid0(VALU_DEP_3) | instskip(NEXT) | instid1(VALU_DEP_2)
	v_sub_nc_u32_e32 v128, v119, v129
	v_lshrrev_b32_e32 v8, 27, v8
	s_delay_alu instid0(VALU_DEP_2) | instskip(NEXT) | instid1(VALU_DEP_2)
	v_cmp_lt_i32_e64 s13, 15, v128
	v_add_nc_u32_e32 v8, v2, v8
	s_delay_alu instid0(VALU_DEP_2) | instskip(NEXT) | instid1(VALU_DEP_2)
	v_add_co_ci_u32_e64 v10, vcc_lo, 0, v10, s13
	v_and_b32_e32 v11, 0xffffffe0, v8
	s_delay_alu instid0(VALU_DEP_1) | instskip(SKIP_1) | instid1(VALU_DEP_2)
	v_sub_nc_u32_e32 v130, v2, v11
	v_ashrrev_i32_e32 v11, 5, v8
	v_lshlrev_b32_e32 v2, 4, v130
	s_delay_alu instid0(VALU_DEP_2) | instskip(NEXT) | instid1(VALU_DEP_2)
	v_sub_nc_u32_e32 v131, v10, v11
	v_lshl_add_u32 v8, v11, 9, v2
	s_delay_alu instid0(VALU_DEP_1) | instskip(NEXT) | instid1(VALU_DEP_1)
	v_sub_nc_u32_e32 v2, v119, v8
	v_cmpx_lt_i32_e32 15, v2
	s_cbranch_execz .LBB2_965
; %bb.959:                              ;   in Loop: Header=BB2_866 Depth=3
	s_cbranch_execnz .LBB2_1902
; %bb.960:                              ;   in Loop: Header=BB2_866 Depth=3
	ds_load_b64 v[9:10], v0
	ds_load_b128 v[132:135], v0
	v_add_nc_u32_e32 v8, v8, v118
	s_mov_b32 s36, 0
	s_delay_alu instid0(VALU_DEP_1) | instskip(SKIP_2) | instid1(VALU_DEP_2)
	v_ashrrev_i32_e32 v11, 31, v8
	s_waitcnt lgkmcnt(1)
	v_add_co_u32 v51, vcc_lo, v9, v8
	v_add_co_ci_u32_e32 v52, vcc_lo, v10, v11, vcc_lo
	s_waitcnt lgkmcnt(0)
	v_add_co_u32 v66, vcc_lo, v132, v8
	v_add_co_ci_u32_e32 v67, vcc_lo, v133, v11, vcc_lo
	v_add_co_u32 v132, vcc_lo, v134, v8
	v_add_co_ci_u32_e32 v133, vcc_lo, v135, v11, vcc_lo
.LBB2_961:                              ;   Parent Loop BB2_51 Depth=1
                                        ;     Parent Loop BB2_864 Depth=2
                                        ;       Parent Loop BB2_866 Depth=3
                                        ; =>      This Loop Header: Depth=4
                                        ;           Child Loop BB2_962 Depth 5
	global_load_b128 v[8:11], v[51:52], off slc dlc
	s_mov_b64 s[14:15], 0
	s_mov_b32 s37, -1
.LBB2_962:                              ;   Parent Loop BB2_51 Depth=1
                                        ;     Parent Loop BB2_864 Depth=2
                                        ;       Parent Loop BB2_866 Depth=3
                                        ;         Parent Loop BB2_961 Depth=4
                                        ; =>        This Inner Loop Header: Depth=5
	s_cmp_eq_u32 s14, 0
	v_cndmask_b32_e64 v144, 0, 1, s37
	s_cselect_b32 vcc_lo, -1, 0
	s_cmp_eq_u32 s14, 1
	s_mov_b32 s37, 0
	s_cselect_b32 s14, -1, 0
	s_delay_alu instid0(SALU_CYCLE_1) | instskip(SKIP_1) | instid1(VALU_DEP_2)
	v_cndmask_b32_e64 v134, v66, v132, s14
	v_cndmask_b32_e64 v135, v67, v133, s14
	v_add_co_u32 v145, s15, 0x200, v134
	s_delay_alu instid0(VALU_DEP_1) | instskip(SKIP_1) | instid1(VALU_DEP_3)
	v_add_co_ci_u32_e64 v146, s15, 0, v135, s15
	v_cmp_ne_u32_e64 s15, 1, v144
	v_cndmask_b32_e64 v132, v132, v145, s14
	v_cndmask_b32_e32 v66, v66, v145, vcc_lo
	s_delay_alu instid0(VALU_DEP_4)
	v_cndmask_b32_e64 v133, v133, v146, s14
	v_cndmask_b32_e32 v67, v67, v146, vcc_lo
	s_and_b32 vcc_lo, exec_lo, s15
	s_mov_b64 s[14:15], 1
	s_waitcnt vmcnt(0)
	global_store_b128 v[134:135], v[8:11], off glc slc dlc
	s_cbranch_vccz .LBB2_962
; %bb.963:                              ;   in Loop: Header=BB2_961 Depth=4
	v_add_co_u32 v66, vcc_lo, v66, v83
	v_sub_nc_u32_e32 v2, v2, v82
	v_add_co_ci_u32_e32 v67, vcc_lo, v67, v86, vcc_lo
	v_add_co_u32 v132, vcc_lo, v132, v83
	v_add_co_ci_u32_e32 v133, vcc_lo, v133, v86, vcc_lo
	s_delay_alu instid0(VALU_DEP_4) | instskip(SKIP_1) | instid1(VALU_DEP_1)
	v_cmp_gt_i32_e32 vcc_lo, 16, v2
	v_add_co_u32 v51, s14, v96, v51
	v_add_co_ci_u32_e64 v52, s14, v97, v52, s14
	v_sub_nc_u32_e32 v131, v131, v71
	s_or_b32 s36, vcc_lo, s36
	s_delay_alu instid0(SALU_CYCLE_1)
	s_and_not1_b32 exec_lo, exec_lo, s36
	s_cbranch_execnz .LBB2_961
; %bb.964:                              ;   in Loop: Header=BB2_866 Depth=3
	s_or_b32 exec_lo, exec_lo, s36
.LBB2_965:                              ;   in Loop: Header=BB2_866 Depth=3
	s_delay_alu instid0(SALU_CYCLE_1) | instskip(SKIP_3) | instid1(VALU_DEP_1)
	s_or_b32 exec_lo, exec_lo, s17
	v_dual_mov_b32 v2, 0 :: v_dual_and_b32 v9, 15, v119
	s_mov_b32 s14, 0
	s_mov_b32 s15, exec_lo
                                        ; implicit-def: $vgpr67
                                        ; implicit-def: $vgpr8
	v_cndmask_b32_e64 v66, v128, v9, s13
	s_delay_alu instid0(VALU_DEP_1)
	v_cmpx_ne_u32_e32 0, v66
	s_cbranch_execz .LBB2_967
; %bb.966:                              ;   in Loop: Header=BB2_866 Depth=3
	v_cmp_lt_i32_e32 vcc_lo, 0, v131
	v_sub_nc_u32_e32 v8, v128, v9
	s_mov_b32 s14, exec_lo
	v_cndmask_b32_e32 v2, 0, v71, vcc_lo
	s_delay_alu instid0(VALU_DEP_2) | instskip(NEXT) | instid1(VALU_DEP_2)
	v_cndmask_b32_e64 v8, 0, v8, s13
	v_sub_nc_u32_e32 v2, v2, v131
	s_delay_alu instid0(VALU_DEP_1) | instskip(NEXT) | instid1(VALU_DEP_1)
	v_lshl_add_u32 v67, v2, 5, v130
	v_ashrrev_i32_e32 v2, 31, v67
	s_delay_alu instid0(VALU_DEP_1) | instskip(NEXT) | instid1(VALU_DEP_1)
	v_lshrrev_b32_e32 v2, 27, v2
	v_add_nc_u32_e32 v9, v67, v2
	v_add3_u32 v2, v129, v118, v8
	s_delay_alu instid0(VALU_DEP_2)
	v_ashrrev_i32_e32 v8, 5, v9
.LBB2_967:                              ;   in Loop: Header=BB2_866 Depth=3
	s_or_b32 exec_lo, exec_lo, s15
	s_delay_alu instid0(SALU_CYCLE_1)
	s_and_b32 s14, s14, exec_lo
.LBB2_968:                              ;   in Loop: Header=BB2_866 Depth=3
	s_or_b32 exec_lo, exec_lo, s16
.LBB2_969:                              ;   in Loop: Header=BB2_866 Depth=3
	s_and_saveexec_b32 s15, s14
	s_cbranch_execz .LBB2_983
; %bb.970:                              ;   in Loop: Header=BB2_866 Depth=3
	v_ashrrev_i32_e32 v9, 31, v66
	s_mov_b32 s14, exec_lo
	s_delay_alu instid0(VALU_DEP_1) | instskip(NEXT) | instid1(VALU_DEP_1)
	v_lshrrev_b32_e32 v9, 24, v9
	v_add_nc_u32_e32 v9, v66, v9
	s_delay_alu instid0(VALU_DEP_1) | instskip(NEXT) | instid1(VALU_DEP_1)
	v_ashrrev_i32_e32 v119, 8, v9
	v_sub_nc_u32_e32 v118, v119, v8
	s_delay_alu instid0(VALU_DEP_1)
	v_cmpx_lt_i32_e32 0, v118
	s_cbranch_execz .LBB2_975
; %bb.971:                              ;   in Loop: Header=BB2_866 Depth=3
	s_cbranch_execnz .LBB2_1860
; %bb.972:                              ;   in Loop: Header=BB2_866 Depth=3
	v_ashrrev_i32_e32 v9, 31, v67
	v_lshlrev_b32_e32 v8, 8, v8
	s_mov_b32 s16, 0
	ds_load_b128 v[128:131], v0
	v_lshrrev_b32_e32 v9, 27, v9
	s_delay_alu instid0(VALU_DEP_1) | instskip(SKIP_2) | instid1(VALU_DEP_1)
	v_add_nc_u32_e32 v11, v67, v9
	ds_load_b64 v[9:10], v0
	v_and_b32_e32 v11, 0xffffffe0, v11
	v_sub_nc_u32_e32 v11, v67, v11
	s_delay_alu instid0(VALU_DEP_1) | instskip(NEXT) | instid1(VALU_DEP_1)
	v_add3_u32 v51, v2, v11, v8
	v_ashrrev_i32_e32 v52, 31, v51
	s_waitcnt lgkmcnt(0)
	v_add_co_u32 v132, vcc_lo, 0xe0, v9
	v_add_co_ci_u32_e32 v133, vcc_lo, 0, v10, vcc_lo
	v_add_co_u32 v8, vcc_lo, v128, v51
	v_add_co_ci_u32_e32 v9, vcc_lo, v129, v52, vcc_lo
	;; [unrolled: 2-line block ×4, first 2 shown]
.LBB2_973:                              ;   Parent Loop BB2_51 Depth=1
                                        ;     Parent Loop BB2_864 Depth=2
                                        ;       Parent Loop BB2_866 Depth=3
                                        ; =>      This Inner Loop Header: Depth=4
	s_delay_alu instid0(VALU_DEP_2) | instskip(NEXT) | instid1(VALU_DEP_2)
	v_add_co_u32 v128, vcc_lo, 0xffffff20, v51
	v_add_co_ci_u32_e32 v129, vcc_lo, -1, v52, vcc_lo
	v_add_co_u32 v130, vcc_lo, 0xffffff40, v51
	v_add_co_ci_u32_e32 v131, vcc_lo, -1, v52, vcc_lo
	;; [unrolled: 2-line block ×7, first 2 shown]
	flat_load_u8 v150, v[51:52] slc dlc
	flat_load_u8 v128, v[128:129] slc dlc
	;; [unrolled: 1-line block ×8, first 2 shown]
	v_sub_nc_u32_e32 v118, v118, v71
	v_add_co_u32 v51, vcc_lo, v51, v99
	v_add_co_ci_u32_e32 v52, vcc_lo, v52, v100, vcc_lo
	s_delay_alu instid0(VALU_DEP_3)
	v_cmp_gt_i32_e32 vcc_lo, 1, v118
	s_waitcnt vmcnt(6) lgkmcnt(6)
	flat_store_b8 v[8:9], v128 glc slc dlc
	s_waitcnt vmcnt(5) lgkmcnt(6)
	flat_store_b8 v[8:9], v129 offset:32 glc slc dlc
	s_waitcnt vmcnt(4) lgkmcnt(6)
	flat_store_b8 v[8:9], v130 offset:64 glc slc dlc
	;; [unrolled: 2-line block ×5, first 2 shown]
	s_waitcnt vmcnt(0) lgkmcnt(6)
	s_clause 0x1
	flat_store_b8 v[8:9], v134 offset:192 glc slc dlc
	flat_store_b8 v[8:9], v150 offset:224 glc slc dlc
	s_clause 0x7
	flat_store_b8 v[10:11], v128 glc slc dlc
	flat_store_b8 v[10:11], v129 offset:32 glc slc dlc
	flat_store_b8 v[10:11], v130 offset:64 glc slc dlc
	flat_store_b8 v[10:11], v131 offset:96 glc slc dlc
	flat_store_b8 v[10:11], v132 offset:128 glc slc dlc
	flat_store_b8 v[10:11], v133 offset:160 glc slc dlc
	flat_store_b8 v[10:11], v134 offset:192 glc slc dlc
	flat_store_b8 v[10:11], v150 offset:224 glc slc dlc
	v_add_co_u32 v8, s13, v8, v99
	s_delay_alu instid0(VALU_DEP_1) | instskip(SKIP_1) | instid1(VALU_DEP_1)
	v_add_co_ci_u32_e64 v9, s13, v9, v100, s13
	v_add_co_u32 v10, s13, v10, v99
	v_add_co_ci_u32_e64 v11, s13, v11, v100, s13
	s_or_b32 s16, vcc_lo, s16
	s_delay_alu instid0(SALU_CYCLE_1)
	s_and_not1_b32 exec_lo, exec_lo, s16
	s_cbranch_execnz .LBB2_973
; %bb.974:                              ;   in Loop: Header=BB2_866 Depth=3
	s_or_b32 exec_lo, exec_lo, s16
.LBB2_975:                              ;   in Loop: Header=BB2_866 Depth=3
	s_delay_alu instid0(SALU_CYCLE_1) | instskip(SKIP_2) | instid1(VALU_DEP_1)
	s_or_b32 exec_lo, exec_lo, s14
	v_lshlrev_b32_e32 v8, 8, v119
	s_mov_b32 s36, exec_lo
	v_cmpx_ne_u32_e64 v66, v8
	s_cbranch_execz .LBB2_982
; %bb.976:                              ;   in Loop: Header=BB2_866 Depth=3
	v_ashrrev_i32_e32 v9, 31, v67
	v_lshlrev_b32_e32 v10, 5, v118
	s_delay_alu instid0(VALU_DEP_2) | instskip(NEXT) | instid1(VALU_DEP_1)
	v_lshrrev_b32_e32 v9, 27, v9
	v_add_nc_u32_e32 v9, v67, v9
	s_delay_alu instid0(VALU_DEP_1) | instskip(NEXT) | instid1(VALU_DEP_1)
	v_and_b32_e32 v9, 0xffffffe0, v9
	v_sub_nc_u32_e32 v9, v67, v9
	s_delay_alu instid0(VALU_DEP_1) | instskip(NEXT) | instid1(VALU_DEP_1)
	v_sub_nc_u32_e32 v9, v9, v10
	v_add_nc_u32_e32 v8, v8, v9
	s_delay_alu instid0(VALU_DEP_1) | instskip(NEXT) | instid1(VALU_DEP_1)
	v_sub_nc_u32_e32 v10, v66, v8
	v_cmp_lt_i32_e32 vcc_lo, 0, v10
	s_and_b32 exec_lo, exec_lo, vcc_lo
	s_cbranch_execz .LBB2_982
; %bb.977:                              ;   in Loop: Header=BB2_866 Depth=3
	s_cbranch_execnz .LBB2_1896
; %bb.978:                              ;   in Loop: Header=BB2_866 Depth=3
	ds_load_b64 v[51:52], v0
	ds_load_b128 v[128:131], v0
	v_add_nc_u32_e32 v66, v8, v2
	s_mov_b32 s37, 0
	s_delay_alu instid0(VALU_DEP_1) | instskip(SKIP_2) | instid1(VALU_DEP_2)
	v_ashrrev_i32_e32 v67, 31, v66
	s_waitcnt lgkmcnt(1)
	v_add_co_u32 v8, vcc_lo, v51, v66
	v_add_co_ci_u32_e32 v9, vcc_lo, v52, v67, vcc_lo
	s_waitcnt lgkmcnt(0)
	v_add_co_u32 v2, vcc_lo, v128, v66
	v_add_co_ci_u32_e32 v11, vcc_lo, v129, v67, vcc_lo
	v_add_co_u32 v51, vcc_lo, v130, v66
	v_add_co_ci_u32_e32 v52, vcc_lo, v131, v67, vcc_lo
	s_set_inst_prefetch_distance 0x1
.LBB2_979:                              ;   Parent Loop BB2_51 Depth=1
                                        ;     Parent Loop BB2_864 Depth=2
                                        ;       Parent Loop BB2_866 Depth=3
                                        ; =>      This Loop Header: Depth=4
                                        ;           Child Loop BB2_980 Depth 5
	flat_load_u8 v66, v[8:9] slc dlc
	s_mov_b64 s[16:17], 0
	s_mov_b32 s38, -1
.LBB2_980:                              ;   Parent Loop BB2_51 Depth=1
                                        ;     Parent Loop BB2_864 Depth=2
                                        ;       Parent Loop BB2_866 Depth=3
                                        ;         Parent Loop BB2_979 Depth=4
                                        ; =>        This Inner Loop Header: Depth=5
	s_cmp_eq_u32 s16, 1
	s_cselect_b32 vcc_lo, -1, 0
	s_cmp_eq_u32 s16, 0
	v_dual_cndmask_b32 v119, v11, v52 :: v_dual_cndmask_b32 v118, v2, v51
	s_mov_b64 s[16:17], 1
	s_delay_alu instid0(VALU_DEP_1) | instskip(NEXT) | instid1(VALU_DEP_1)
	v_add_co_u32 v67, s13, v118, 32
	v_add_co_ci_u32_e64 v128, s13, 0, v119, s13
	s_cselect_b32 s13, -1, 0
	s_and_b32 s14, exec_lo, s38
	s_delay_alu instid0(VALU_DEP_1)
	v_dual_cndmask_b32 v51, v51, v67 :: v_dual_cndmask_b32 v52, v52, v128
	v_cndmask_b32_e64 v11, v11, v128, s13
	v_cndmask_b32_e64 v2, v2, v67, s13
	s_mov_b32 s38, 0
	s_mov_b32 vcc_lo, s14
	s_waitcnt vmcnt(0) lgkmcnt(0)
	flat_store_b8 v[118:119], v66 glc slc dlc
	s_cbranch_vccnz .LBB2_980
; %bb.981:                              ;   in Loop: Header=BB2_979 Depth=4
	v_add_co_u32 v2, vcc_lo, v2, v98
	v_sub_nc_u32_e32 v10, v10, v87
	v_add_co_ci_u32_e32 v11, vcc_lo, v11, v101, vcc_lo
	v_add_co_u32 v51, vcc_lo, v51, v98
	v_add_co_ci_u32_e32 v52, vcc_lo, v52, v101, vcc_lo
	s_delay_alu instid0(VALU_DEP_4) | instskip(SKIP_1) | instid1(VALU_DEP_1)
	v_cmp_gt_i32_e32 vcc_lo, 1, v10
	v_add_co_u32 v8, s13, v102, v8
	v_add_co_ci_u32_e64 v9, s13, v103, v9, s13
	s_or_b32 s37, vcc_lo, s37
	s_delay_alu instid0(SALU_CYCLE_1)
	s_and_not1_b32 exec_lo, exec_lo, s37
	s_cbranch_execnz .LBB2_979
.LBB2_982:                              ;   in Loop: Header=BB2_866 Depth=3
	s_set_inst_prefetch_distance 0x2
	s_or_b32 exec_lo, exec_lo, s36
.LBB2_983:                              ;   in Loop: Header=BB2_866 Depth=3
	s_delay_alu instid0(SALU_CYCLE_1)
	s_or_b32 exec_lo, exec_lo, s15
	s_mov_b32 s13, 0
	s_branch .LBB2_985
.LBB2_984:                              ;   in Loop: Header=BB2_866 Depth=3
	s_mov_b32 s13, -1
.LBB2_985:                              ;   in Loop: Header=BB2_866 Depth=3
	s_delay_alu instid0(SALU_CYCLE_1)
	s_and_b32 vcc_lo, exec_lo, s13
	s_cbranch_vccz .LBB2_1019
; %bb.986:                              ;   in Loop: Header=BB2_866 Depth=3
	s_mov_b32 s13, -1
	s_and_saveexec_b32 s14, s6
	s_cbranch_execz .LBB2_988
; %bb.987:                              ;   in Loop: Header=BB2_866 Depth=3
	ds_load_b32 v2, v0 offset:720
	s_waitcnt lgkmcnt(0)
	v_and_b32_e32 v2, 15, v2
	s_delay_alu instid0(VALU_DEP_1)
	v_cmp_eq_u32_e32 vcc_lo, 0, v2
	s_or_not1_b32 s13, vcc_lo, exec_lo
.LBB2_988:                              ;   in Loop: Header=BB2_866 Depth=3
	s_or_b32 exec_lo, exec_lo, s14
	s_and_saveexec_b32 s14, s5
	s_cbranch_execz .LBB2_990
; %bb.989:                              ;   in Loop: Header=BB2_866 Depth=3
	ds_load_b32 v2, v0 offset:784
	s_waitcnt lgkmcnt(0)
	v_and_b32_e32 v2, 15, v2
	s_delay_alu instid0(VALU_DEP_1) | instskip(SKIP_3) | instid1(SALU_CYCLE_1)
	v_cmp_eq_u32_e32 vcc_lo, 0, v2
	s_and_b32 s15, s13, vcc_lo
	s_and_not1_b32 s13, s13, exec_lo
	s_and_b32 s15, s15, exec_lo
	s_or_b32 s13, s13, s15
.LBB2_990:                              ;   in Loop: Header=BB2_866 Depth=3
	s_or_b32 exec_lo, exec_lo, s14
	s_xor_b32 s13, s13, -1
	v_mov_b32_e32 v52, v0
	v_cndmask_b32_e64 v2, 0, 1, s13
	;;#ASMSTART
	;;#ASMEND
	s_delay_alu instid0(VALU_DEP_1)
	v_cmp_ne_u32_e32 vcc_lo, 0, v2
	v_dual_mov_b32 v2, 0 :: v_dual_mov_b32 v51, v65
	v_mov_b32_e32 v118, v80
	s_mov_b32 s13, -1
	s_cbranch_vccnz .LBB2_1006
; %bb.991:                              ;   in Loop: Header=BB2_866 Depth=3
	v_ashrrev_i32_e32 v2, 31, v65
	s_mov_b32 s14, exec_lo
	s_delay_alu instid0(VALU_DEP_1) | instskip(NEXT) | instid1(VALU_DEP_1)
	v_lshrrev_b32_e32 v2, 22, v2
	v_add_nc_u32_e32 v2, v65, v2
	s_delay_alu instid0(VALU_DEP_1) | instskip(NEXT) | instid1(VALU_DEP_1)
	v_ashrrev_i32_e32 v2, 10, v2
	v_sub_nc_u32_e32 v66, v2, v80
	s_delay_alu instid0(VALU_DEP_1)
	v_cmpx_lt_i32_e32 0, v66
	s_cbranch_execz .LBB2_996
; %bb.992:                              ;   in Loop: Header=BB2_866 Depth=3
	s_cbranch_execnz .LBB2_1880
; %bb.993:                              ;   in Loop: Header=BB2_866 Depth=3
	ds_load_b64 v[8:9], v0
	v_dual_mov_b32 v10, v34 :: v_dual_mov_b32 v11, v35
	s_mov_b32 s15, 0
.LBB2_994:                              ;   Parent Loop BB2_51 Depth=1
                                        ;     Parent Loop BB2_864 Depth=2
                                        ;       Parent Loop BB2_866 Depth=3
                                        ; =>      This Inner Loop Header: Depth=4
	s_waitcnt lgkmcnt(0)
	s_delay_alu instid0(VALU_DEP_1) | instskip(NEXT) | instid1(VALU_DEP_2)
	v_add_co_u32 v51, vcc_lo, v8, v10
	v_add_co_ci_u32_e32 v52, vcc_lo, v9, v11, vcc_lo
	v_sub_nc_u32_e32 v66, v66, v71
	v_add_co_u32 v10, s13, v10, v84
	s_clause 0x1
	global_load_b128 v[128:131], v[51:52], off slc dlc
	global_load_b128 v[132:135], v[51:52], off offset:512 slc dlc
	v_add_co_ci_u32_e64 v11, s13, v11, v85, s13
	v_cmp_gt_i32_e32 vcc_lo, 1, v66
	s_waitcnt vmcnt(1)
	global_store_b128 v[51:52], v[128:131], off glc slc dlc
	s_waitcnt vmcnt(0)
	global_store_b128 v[51:52], v[132:135], off offset:512 glc slc dlc
	s_or_b32 s15, vcc_lo, s15
	s_delay_alu instid0(SALU_CYCLE_1)
	s_and_not1_b32 exec_lo, exec_lo, s15
	s_cbranch_execnz .LBB2_994
; %bb.995:                              ;   in Loop: Header=BB2_866 Depth=3
	s_or_b32 exec_lo, exec_lo, s15
.LBB2_996:                              ;   in Loop: Header=BB2_866 Depth=3
	s_delay_alu instid0(SALU_CYCLE_1) | instskip(SKIP_4) | instid1(VALU_DEP_2)
	s_or_b32 exec_lo, exec_lo, s14
	v_lshlrev_b32_e32 v10, 10, v2
	v_mov_b32_e32 v2, 0
	s_mov_b32 s13, 0
	s_mov_b32 s15, exec_lo
                                        ; implicit-def: $vgpr51
                                        ; implicit-def: $vgpr52
                                        ; implicit-def: $vgpr118
	v_cmpx_ne_u32_e64 v65, v10
	s_cbranch_execz .LBB2_1005
; %bb.997:                              ;   in Loop: Header=BB2_866 Depth=3
	v_lshlrev_b32_e32 v2, 5, v66
	v_sub_nc_u32_e32 v9, v65, v10
	s_mov_b32 s16, exec_lo
	s_delay_alu instid0(VALU_DEP_2) | instskip(NEXT) | instid1(VALU_DEP_2)
	v_sub_nc_u32_e32 v2, v81, v2
	v_ashrrev_i32_e32 v11, 31, v9
	s_delay_alu instid0(VALU_DEP_2) | instskip(NEXT) | instid1(VALU_DEP_2)
	v_ashrrev_i32_e32 v8, 31, v2
	v_lshrrev_b32_e32 v11, 23, v11
	s_delay_alu instid0(VALU_DEP_2) | instskip(NEXT) | instid1(VALU_DEP_2)
	v_lshrrev_b32_e32 v8, 27, v8
	v_add_nc_u32_e32 v52, v9, v11
	s_delay_alu instid0(VALU_DEP_2) | instskip(NEXT) | instid1(VALU_DEP_2)
	v_add_nc_u32_e32 v8, v2, v8
	v_and_b32_e32 v11, 0xfffffe00, v52
	v_ashrrev_i32_e32 v52, 9, v52
	s_delay_alu instid0(VALU_DEP_3) | instskip(NEXT) | instid1(VALU_DEP_3)
	v_and_b32_e32 v51, 0xffffffe0, v8
	v_sub_nc_u32_e32 v67, v9, v11
	v_ashrrev_i32_e32 v8, 5, v8
	s_delay_alu instid0(VALU_DEP_3) | instskip(NEXT) | instid1(VALU_DEP_3)
	v_sub_nc_u32_e32 v66, v2, v51
	v_cmp_lt_i32_e32 vcc_lo, 15, v67
	s_delay_alu instid0(VALU_DEP_2) | instskip(SKIP_1) | instid1(VALU_DEP_2)
	v_lshlrev_b32_e32 v2, 4, v66
	v_add_co_ci_u32_e64 v52, s13, 0, v52, vcc_lo
	v_lshl_add_u32 v51, v8, 9, v2
	s_delay_alu instid0(VALU_DEP_2) | instskip(NEXT) | instid1(VALU_DEP_2)
	v_sub_nc_u32_e32 v119, v52, v8
	v_sub_nc_u32_e32 v2, v9, v51
	s_delay_alu instid0(VALU_DEP_1)
	v_cmpx_lt_i32_e32 15, v2
	s_cbranch_execz .LBB2_1002
; %bb.998:                              ;   in Loop: Header=BB2_866 Depth=3
	s_cbranch_execnz .LBB2_1910
; %bb.999:                              ;   in Loop: Header=BB2_866 Depth=3
	ds_load_b64 v[8:9], v0
	v_add_nc_u32_e32 v51, v51, v10
	s_mov_b32 s17, 0
	s_delay_alu instid0(VALU_DEP_1)
	v_ashrrev_i32_e32 v52, 31, v51
.LBB2_1000:                             ;   Parent Loop BB2_51 Depth=1
                                        ;     Parent Loop BB2_864 Depth=2
                                        ;       Parent Loop BB2_866 Depth=3
                                        ; =>      This Inner Loop Header: Depth=4
	s_waitcnt lgkmcnt(0)
	v_add_co_u32 v132, s13, v8, v51
	s_delay_alu instid0(VALU_DEP_1)
	v_add_co_ci_u32_e64 v133, s13, v9, v52, s13
	v_sub_nc_u32_e32 v2, v2, v82
	v_add_co_u32 v51, s14, v51, v96
	global_load_b128 v[128:131], v[132:133], off slc dlc
	v_sub_nc_u32_e32 v119, v119, v71
	v_cmp_gt_i32_e64 s13, 16, v2
	v_add_co_ci_u32_e64 v52, s14, v52, v97, s14
	s_delay_alu instid0(VALU_DEP_2)
	s_or_b32 s17, s13, s17
	s_waitcnt vmcnt(0)
	global_store_b128 v[132:133], v[128:131], off glc slc dlc
	s_and_not1_b32 exec_lo, exec_lo, s17
	s_cbranch_execnz .LBB2_1000
; %bb.1001:                             ;   in Loop: Header=BB2_866 Depth=3
	s_or_b32 exec_lo, exec_lo, s17
.LBB2_1002:                             ;   in Loop: Header=BB2_866 Depth=3
	s_delay_alu instid0(SALU_CYCLE_1) | instskip(SKIP_3) | instid1(VALU_DEP_1)
	s_or_b32 exec_lo, exec_lo, s16
	v_and_b32_e32 v8, 15, v65
	s_mov_b32 s14, 0
	s_mov_b32 s16, exec_lo
                                        ; implicit-def: $vgpr52
                                        ; implicit-def: $vgpr118
	v_dual_mov_b32 v2, 0 :: v_dual_cndmask_b32 v51, v67, v8
	s_delay_alu instid0(VALU_DEP_1)
	v_cmpx_ne_u32_e32 0, v51
; %bb.1003:                             ;   in Loop: Header=BB2_866 Depth=3
	v_cmp_lt_i32_e64 s13, 0, v119
	v_sub_nc_u32_e32 v8, v67, v8
	s_mov_b32 s14, exec_lo
	s_delay_alu instid0(VALU_DEP_2) | instskip(NEXT) | instid1(VALU_DEP_1)
	v_cndmask_b32_e64 v2, 0, v71, s13
	v_sub_nc_u32_e32 v2, v2, v119
	s_delay_alu instid0(VALU_DEP_1) | instskip(NEXT) | instid1(VALU_DEP_1)
	v_lshl_add_u32 v52, v2, 5, v66
	v_ashrrev_i32_e32 v2, 31, v52
	s_delay_alu instid0(VALU_DEP_1) | instskip(NEXT) | instid1(VALU_DEP_1)
	v_lshrrev_b32_e32 v2, 27, v2
	v_dual_cndmask_b32 v8, 0, v8 :: v_dual_add_nc_u32 v9, v52, v2
	s_delay_alu instid0(VALU_DEP_1) | instskip(NEXT) | instid1(VALU_DEP_2)
	v_add3_u32 v2, v11, v10, v8
	v_ashrrev_i32_e32 v118, 5, v9
; %bb.1004:                             ;   in Loop: Header=BB2_866 Depth=3
	s_or_b32 exec_lo, exec_lo, s16
	s_delay_alu instid0(SALU_CYCLE_1)
	s_and_b32 s13, s14, exec_lo
.LBB2_1005:                             ;   in Loop: Header=BB2_866 Depth=3
	s_or_b32 exec_lo, exec_lo, s15
.LBB2_1006:                             ;   in Loop: Header=BB2_866 Depth=3
	s_and_saveexec_b32 s14, s13
	s_cbranch_execz .LBB2_1018
; %bb.1007:                             ;   in Loop: Header=BB2_866 Depth=3
	v_ashrrev_i32_e32 v8, 31, v51
	s_mov_b32 s13, exec_lo
	s_delay_alu instid0(VALU_DEP_1) | instskip(NEXT) | instid1(VALU_DEP_1)
	v_lshrrev_b32_e32 v8, 24, v8
	v_add_nc_u32_e32 v8, v51, v8
	s_delay_alu instid0(VALU_DEP_1) | instskip(NEXT) | instid1(VALU_DEP_1)
	v_ashrrev_i32_e32 v67, 8, v8
	v_sub_nc_u32_e32 v66, v67, v118
	s_delay_alu instid0(VALU_DEP_1)
	v_cmpx_lt_i32_e32 0, v66
	s_cbranch_execz .LBB2_1012
; %bb.1008:                             ;   in Loop: Header=BB2_866 Depth=3
	s_cbranch_execnz .LBB2_1870
; %bb.1009:                             ;   in Loop: Header=BB2_866 Depth=3
	v_ashrrev_i32_e32 v8, 31, v52
	s_mov_b32 s15, 0
	s_delay_alu instid0(VALU_DEP_1) | instskip(NEXT) | instid1(VALU_DEP_1)
	v_lshrrev_b32_e32 v8, 27, v8
	v_add_nc_u32_e32 v10, v52, v8
	ds_load_b64 v[8:9], v0
	v_lshlrev_b32_e32 v11, 8, v118
	v_and_b32_e32 v10, 0xffffffe0, v10
	s_delay_alu instid0(VALU_DEP_1) | instskip(NEXT) | instid1(VALU_DEP_1)
	v_sub_nc_u32_e32 v10, v52, v10
	v_add3_u32 v118, v2, v10, v11
	s_delay_alu instid0(VALU_DEP_1)
	v_ashrrev_i32_e32 v119, 31, v118
	s_waitcnt lgkmcnt(0)
	v_dual_mov_b32 v11, v9 :: v_dual_mov_b32 v10, v8
.LBB2_1010:                             ;   Parent Loop BB2_51 Depth=1
                                        ;     Parent Loop BB2_864 Depth=2
                                        ;       Parent Loop BB2_866 Depth=3
                                        ; =>      This Inner Loop Header: Depth=4
	s_delay_alu instid0(VALU_DEP_1) | instskip(NEXT) | instid1(VALU_DEP_2)
	v_add_co_u32 v128, vcc_lo, v118, v10
	v_add_co_ci_u32_e32 v129, vcc_lo, v119, v11, vcc_lo
	v_sub_nc_u32_e32 v66, v66, v71
	s_clause 0x7
	flat_load_u8 v130, v[128:129] slc dlc
	flat_load_u8 v131, v[128:129] offset:32 slc dlc
	flat_load_u8 v132, v[128:129] offset:64 slc dlc
	flat_load_u8 v133, v[128:129] offset:96 slc dlc
	flat_load_u8 v134, v[128:129] offset:128 slc dlc
	flat_load_u8 v135, v[128:129] offset:160 slc dlc
	flat_load_u8 v144, v[128:129] offset:192 slc dlc
	flat_load_u8 v145, v[128:129] offset:224 slc dlc
	v_add_co_u32 v128, vcc_lo, v118, v8
	v_add_co_ci_u32_e32 v129, vcc_lo, v119, v9, vcc_lo
	v_add_co_u32 v10, vcc_lo, v10, v99
	v_add_co_ci_u32_e32 v11, vcc_lo, v11, v100, vcc_lo
	;; [unrolled: 2-line block ×3, first 2 shown]
	v_cmp_gt_i32_e32 vcc_lo, 1, v66
	s_waitcnt vmcnt(7) lgkmcnt(7)
	flat_store_b8 v[128:129], v130 glc slc dlc
	s_waitcnt vmcnt(6) lgkmcnt(7)
	flat_store_b8 v[128:129], v131 offset:32 glc slc dlc
	s_waitcnt vmcnt(5) lgkmcnt(7)
	flat_store_b8 v[128:129], v132 offset:64 glc slc dlc
	;; [unrolled: 2-line block ×7, first 2 shown]
	s_or_b32 s15, vcc_lo, s15
	s_delay_alu instid0(SALU_CYCLE_1)
	s_and_not1_b32 exec_lo, exec_lo, s15
	s_cbranch_execnz .LBB2_1010
; %bb.1011:                             ;   in Loop: Header=BB2_866 Depth=3
	s_or_b32 exec_lo, exec_lo, s15
.LBB2_1012:                             ;   in Loop: Header=BB2_866 Depth=3
	s_delay_alu instid0(SALU_CYCLE_1) | instskip(SKIP_2) | instid1(VALU_DEP_1)
	s_or_b32 exec_lo, exec_lo, s13
	v_lshlrev_b32_e32 v8, 8, v67
	s_mov_b32 s15, exec_lo
	v_cmpx_ne_u32_e64 v51, v8
	s_cbranch_execz .LBB2_1017
; %bb.1013:                             ;   in Loop: Header=BB2_866 Depth=3
	v_ashrrev_i32_e32 v9, 31, v52
	v_lshlrev_b32_e32 v10, 5, v66
	s_delay_alu instid0(VALU_DEP_2) | instskip(NEXT) | instid1(VALU_DEP_1)
	v_lshrrev_b32_e32 v9, 27, v9
	v_add_nc_u32_e32 v9, v52, v9
	s_delay_alu instid0(VALU_DEP_1) | instskip(NEXT) | instid1(VALU_DEP_1)
	v_and_b32_e32 v9, 0xffffffe0, v9
	v_sub_nc_u32_e32 v9, v52, v9
	s_delay_alu instid0(VALU_DEP_1) | instskip(NEXT) | instid1(VALU_DEP_1)
	v_sub_nc_u32_e32 v9, v9, v10
	v_add_nc_u32_e32 v11, v8, v9
	s_delay_alu instid0(VALU_DEP_1) | instskip(NEXT) | instid1(VALU_DEP_1)
	v_sub_nc_u32_e32 v10, v51, v11
	v_cmp_lt_i32_e32 vcc_lo, 0, v10
	s_and_b32 exec_lo, exec_lo, vcc_lo
	s_cbranch_execz .LBB2_1017
; %bb.1014:                             ;   in Loop: Header=BB2_866 Depth=3
	s_cbranch_execnz .LBB2_1906
; %bb.1015:                             ;   in Loop: Header=BB2_866 Depth=3
	ds_load_b64 v[8:9], v0
	v_add_nc_u32_e32 v2, v11, v2
	s_mov_b32 s16, 0
	s_delay_alu instid0(VALU_DEP_1)
	v_ashrrev_i32_e32 v11, 31, v2
.LBB2_1016:                             ;   Parent Loop BB2_51 Depth=1
                                        ;     Parent Loop BB2_864 Depth=2
                                        ;       Parent Loop BB2_866 Depth=3
                                        ; =>      This Inner Loop Header: Depth=4
	s_waitcnt lgkmcnt(0)
	v_add_co_u32 v51, vcc_lo, v8, v2
	s_delay_alu instid0(VALU_DEP_2)
	v_add_co_ci_u32_e32 v52, vcc_lo, v9, v11, vcc_lo
	v_sub_nc_u32_e32 v10, v10, v87
	v_add_co_u32 v2, s13, v2, v102
	flat_load_u8 v66, v[51:52] slc dlc
	v_add_co_ci_u32_e64 v11, s13, v11, v103, s13
	v_cmp_gt_i32_e32 vcc_lo, 1, v10
	s_or_b32 s16, vcc_lo, s16
	s_waitcnt vmcnt(0) lgkmcnt(0)
	flat_store_b8 v[51:52], v66 glc slc dlc
	s_and_not1_b32 exec_lo, exec_lo, s16
	s_cbranch_execnz .LBB2_1016
.LBB2_1017:                             ;   in Loop: Header=BB2_866 Depth=3
	s_or_b32 exec_lo, exec_lo, s15
.LBB2_1018:                             ;   in Loop: Header=BB2_866 Depth=3
	s_delay_alu instid0(SALU_CYCLE_1)
	s_or_b32 exec_lo, exec_lo, s14
.LBB2_1019:                             ;   in Loop: Header=BB2_866 Depth=3
	s_and_saveexec_b32 s13, s3
	s_cbranch_execz .LBB2_1041
; %bb.1020:                             ;   in Loop: Header=BB2_866 Depth=3
	s_and_saveexec_b32 s14, s4
	s_delay_alu instid0(SALU_CYCLE_1)
	s_xor_b32 s14, exec_lo, s14
	s_cbranch_execz .LBB2_1038
; %bb.1021:                             ;   in Loop: Header=BB2_866 Depth=3
	s_and_saveexec_b32 s15, s1
	s_cbranch_execz .LBB2_1037
; %bb.1022:                             ;   in Loop: Header=BB2_866 Depth=3
	s_mov_b32 s17, exec_lo
	s_mov_b32 s16, exec_lo
	v_mbcnt_lo_u32_b32 v2, s17, 0
	s_waitcnt lgkmcnt(0)
	s_waitcnt_vscnt null, 0x0
	buffer_gl1_inv
	buffer_gl0_inv
	v_cmpx_eq_u32_e32 0, v2
	s_cbranch_execz .LBB2_1024
; %bb.1023:                             ;   in Loop: Header=BB2_866 Depth=3
	s_bcnt1_i32_b32 s17, s17
	s_delay_alu instid0(SALU_CYCLE_1)
	v_mov_b32_e32 v2, s17
	ds_add_u64 v0, v[2:3]
	s_cbranch_execnz .LBB2_1854
.LBB2_1024:                             ;   in Loop: Header=BB2_866 Depth=3
	s_or_b32 exec_lo, exec_lo, s16
	s_cbranch_execnz .LBB2_1832
; %bb.1025:                             ;   in Loop: Header=BB2_866 Depth=3
	ds_load_b64 v[8:9], v0
	v_add_co_u32 v12, vcc_lo, v12, v71
	v_add_co_ci_u32_e32 v13, vcc_lo, 0, v13, vcc_lo
	s_mov_b32 s16, exec_lo
	s_waitcnt lgkmcnt(0)
	s_delay_alu instid0(VALU_DEP_1)
	v_cmpx_lt_u64_e64 v[8:9], v[12:13]
	s_cbranch_execz .LBB2_1036
; %bb.1026:                             ;   in Loop: Header=BB2_866 Depth=3
	s_mov_b32 s17, 0
	s_mov_b32 s38, 0
                                        ; implicit-def: $sgpr36
                                        ; implicit-def: $sgpr37
	s_branch .LBB2_1028
.LBB2_1027:                             ;   in Loop: Header=BB2_1028 Depth=4
	s_or_b32 exec_lo, exec_lo, s40
	s_delay_alu instid0(SALU_CYCLE_1) | instskip(NEXT) | instid1(SALU_CYCLE_1)
	s_and_b32 vcc_lo, exec_lo, vcc_lo
	s_or_b32 s17, vcc_lo, s17
	s_and_not1_b32 vcc_lo, s36, exec_lo
	s_and_b32 s36, s37, exec_lo
	s_delay_alu instid0(SALU_CYCLE_1)
	s_or_b32 s36, vcc_lo, s36
	s_and_not1_b32 exec_lo, exec_lo, s17
	s_cbranch_execz .LBB2_1034
.LBB2_1028:                             ;   Parent Loop BB2_51 Depth=1
                                        ;     Parent Loop BB2_864 Depth=2
                                        ;       Parent Loop BB2_866 Depth=3
                                        ; =>      This Inner Loop Header: Depth=4
	s_add_i32 s38, s38, 1
                                        ; implicit-def: $sgpr40
	s_delay_alu instid0(SALU_CYCLE_1) | instskip(SKIP_1) | instid1(SALU_CYCLE_1)
	s_cmpk_lg_i32 s38, 0x2710
	s_cselect_b32 s39, -1, 0
	s_and_b32 vcc_lo, exec_lo, s39
	s_cbranch_vccz .LBB2_1032
.LBB2_1029:                             ;   in Loop: Header=BB2_1028 Depth=4
	s_and_not1_b32 s37, s37, exec_lo
	s_and_b32 s40, s40, exec_lo
	s_mov_b32 vcc_lo, -1
	s_or_b32 s37, s37, s40
	s_and_saveexec_b32 s40, s39
	s_cbranch_execz .LBB2_1027
; %bb.1030:                             ;   in Loop: Header=BB2_1028 Depth=4
	s_sleep 1
	s_cbranch_execnz .LBB2_1886
; %bb.1031:                             ;   in Loop: Header=BB2_1028 Depth=4
	ds_load_b64 v[8:9], v0
	s_and_not1_b32 s37, s37, exec_lo
	s_waitcnt lgkmcnt(0)
	v_cmp_ge_u64_e32 vcc_lo, v[8:9], v[12:13]
	s_or_not1_b32 vcc_lo, vcc_lo, exec_lo
	s_branch .LBB2_1027
.LBB2_1032:                             ;   in Loop: Header=BB2_1028 Depth=4
	s_cbranch_execnz .LBB2_1894
; %bb.1033:                             ;   in Loop: Header=BB2_1028 Depth=4
	ds_load_b64 v[8:9], v0
	s_and_not1_b32 s39, s39, exec_lo
	s_mov_b32 s38, 0
	s_mov_b32 s40, -1
	s_waitcnt lgkmcnt(0)
	flat_load_b32 v2, v[8:9] glc
	s_waitcnt vmcnt(0) lgkmcnt(0)
	buffer_gl1_inv
	buffer_gl0_inv
	v_cmp_eq_u32_e32 vcc_lo, 0, v2
	s_and_b32 vcc_lo, vcc_lo, exec_lo
	s_delay_alu instid0(SALU_CYCLE_1)
	s_or_b32 s39, s39, vcc_lo
	s_branch .LBB2_1029
.LBB2_1034:                             ;   in Loop: Header=BB2_866 Depth=3
	s_or_b32 exec_lo, exec_lo, s17
	s_and_saveexec_b32 s17, s36
	s_delay_alu instid0(SALU_CYCLE_1)
	s_xor_b32 s17, exec_lo, s17
	s_cbranch_execz .LBB2_1036
; %bb.1035:                             ;   in Loop: Header=BB2_866 Depth=3
	ds_store_b32 v0, v115
	s_cbranch_execnz .LBB2_1940
.LBB2_1036:                             ;   in Loop: Header=BB2_866 Depth=3
	s_or_b32 exec_lo, exec_lo, s16
	;;#ASMSTART
	s_wakeup
	;;#ASMEND
.LBB2_1037:                             ;   in Loop: Header=BB2_866 Depth=3
	s_or_b32 exec_lo, exec_lo, s15
.LBB2_1038:                             ;   in Loop: Header=BB2_866 Depth=3
	s_and_not1_saveexec_b32 s14, s14
	s_cbranch_execz .LBB2_1040
; %bb.1039:                             ;   in Loop: Header=BB2_866 Depth=3
	s_waitcnt lgkmcnt(0)
	s_waitcnt_vscnt null, 0x0
	buffer_gl1_inv
	buffer_gl0_inv
	s_barrier
.LBB2_1040:                             ;   in Loop: Header=BB2_866 Depth=3
	s_or_b32 exec_lo, exec_lo, s14
.LBB2_1041:                             ;   in Loop: Header=BB2_866 Depth=3
	s_delay_alu instid0(SALU_CYCLE_1) | instskip(SKIP_1) | instid1(SALU_CYCLE_1)
	s_or_b32 exec_lo, exec_lo, s13
                                        ; implicit-def: $vgpr2
	s_and_saveexec_b32 s13, s7
	s_xor_b32 s14, exec_lo, s13
	s_cbranch_execz .LBB2_1045
; %bb.1042:                             ;   in Loop: Header=BB2_866 Depth=3
	v_and_b32_e32 v2, 16, v30
	v_cmp_lt_i32_e32 vcc_lo, 0, v65
	s_delay_alu instid0(VALU_DEP_2) | instskip(SKIP_1) | instid1(VALU_DEP_2)
	v_cmp_ne_u32_e64 s13, 0, v2
	v_and_b32_e32 v2, 16, v30
	s_and_b32 s15, s13, vcc_lo
	s_delay_alu instid0(SALU_CYCLE_1)
	s_and_saveexec_b32 s13, s15
	s_cbranch_execz .LBB2_1044
; %bb.1043:                             ;   in Loop: Header=BB2_866 Depth=3
	v_mov_b32_e32 v2, 1
	s_waitcnt lgkmcnt(0)
	s_waitcnt_vscnt null, 0x0
	buffer_gl1_inv
	buffer_gl0_inv
.LBB2_1044:                             ;   in Loop: Header=BB2_866 Depth=3
	s_or_b32 exec_lo, exec_lo, s13
.LBB2_1045:                             ;   in Loop: Header=BB2_866 Depth=3
	s_and_not1_saveexec_b32 s13, s14
	s_cbranch_execz .LBB2_1067
; %bb.1046:                             ;   in Loop: Header=BB2_866 Depth=3
	s_and_saveexec_b32 s14, s4
	s_delay_alu instid0(SALU_CYCLE_1)
	s_xor_b32 s14, exec_lo, s14
	s_cbranch_execz .LBB2_1064
; %bb.1047:                             ;   in Loop: Header=BB2_866 Depth=3
	s_and_saveexec_b32 s15, s1
	s_cbranch_execz .LBB2_1063
; %bb.1048:                             ;   in Loop: Header=BB2_866 Depth=3
	s_mov_b32 s17, exec_lo
	s_mov_b32 s16, exec_lo
	v_mbcnt_lo_u32_b32 v2, s17, 0
	;;#ASMSTART
	s_waitcnt lgkmcnt(0) vmcnt(0)
	;;#ASMEND
	s_delay_alu instid0(VALU_DEP_1)
	v_cmpx_eq_u32_e32 0, v2
	s_cbranch_execz .LBB2_1050
; %bb.1049:                             ;   in Loop: Header=BB2_866 Depth=3
	s_bcnt1_i32_b32 s17, s17
	s_delay_alu instid0(SALU_CYCLE_1)
	v_mov_b32_e32 v2, s17
	ds_add_u64 v0, v[2:3]
	s_cbranch_execnz .LBB2_1856
.LBB2_1050:                             ;   in Loop: Header=BB2_866 Depth=3
	s_or_b32 exec_lo, exec_lo, s16
	s_cbranch_execnz .LBB2_1836
; %bb.1051:                             ;   in Loop: Header=BB2_866 Depth=3
	ds_load_b64 v[8:9], v0
	v_add_co_u32 v12, vcc_lo, v12, v71
	v_add_co_ci_u32_e32 v13, vcc_lo, 0, v13, vcc_lo
	s_mov_b32 s16, exec_lo
	s_waitcnt lgkmcnt(0)
	s_delay_alu instid0(VALU_DEP_1)
	v_cmpx_lt_u64_e64 v[8:9], v[12:13]
	s_cbranch_execz .LBB2_1062
; %bb.1052:                             ;   in Loop: Header=BB2_866 Depth=3
	s_mov_b32 s17, 0
	s_mov_b32 s38, 0
                                        ; implicit-def: $sgpr36
                                        ; implicit-def: $sgpr37
	s_branch .LBB2_1054
.LBB2_1053:                             ;   in Loop: Header=BB2_1054 Depth=4
	s_or_b32 exec_lo, exec_lo, s40
	s_delay_alu instid0(SALU_CYCLE_1) | instskip(NEXT) | instid1(SALU_CYCLE_1)
	s_and_b32 vcc_lo, exec_lo, vcc_lo
	s_or_b32 s17, vcc_lo, s17
	s_and_not1_b32 vcc_lo, s36, exec_lo
	s_and_b32 s36, s37, exec_lo
	s_delay_alu instid0(SALU_CYCLE_1)
	s_or_b32 s36, vcc_lo, s36
	s_and_not1_b32 exec_lo, exec_lo, s17
	s_cbranch_execz .LBB2_1060
.LBB2_1054:                             ;   Parent Loop BB2_51 Depth=1
                                        ;     Parent Loop BB2_864 Depth=2
                                        ;       Parent Loop BB2_866 Depth=3
                                        ; =>      This Inner Loop Header: Depth=4
	s_add_i32 s38, s38, 1
                                        ; implicit-def: $sgpr40
	s_delay_alu instid0(SALU_CYCLE_1) | instskip(SKIP_1) | instid1(SALU_CYCLE_1)
	s_cmpk_lg_i32 s38, 0x2710
	s_cselect_b32 s39, -1, 0
	s_and_b32 vcc_lo, exec_lo, s39
	s_cbranch_vccnz .LBB2_1057
; %bb.1055:                             ;   in Loop: Header=BB2_1054 Depth=4
	s_cbranch_execnz .LBB2_1898
; %bb.1056:                             ;   in Loop: Header=BB2_1054 Depth=4
	ds_load_b64 v[8:9], v0
	s_and_not1_b32 s39, s39, exec_lo
	s_mov_b32 s38, 0
	s_mov_b32 s40, -1
	s_waitcnt lgkmcnt(0)
	s_waitcnt_vscnt null, 0x0
	flat_load_b32 v2, v[8:9] glc
	s_waitcnt vmcnt(0) lgkmcnt(0)
	buffer_gl1_inv
	buffer_gl0_inv
	v_cmp_eq_u32_e32 vcc_lo, 0, v2
	s_and_b32 vcc_lo, vcc_lo, exec_lo
	s_delay_alu instid0(SALU_CYCLE_1)
	s_or_b32 s39, s39, vcc_lo
.LBB2_1057:                             ;   in Loop: Header=BB2_1054 Depth=4
	s_and_not1_b32 s37, s37, exec_lo
	s_and_b32 s40, s40, exec_lo
	s_mov_b32 vcc_lo, -1
	s_or_b32 s37, s37, s40
	s_and_saveexec_b32 s40, s39
	s_cbranch_execz .LBB2_1053
; %bb.1058:                             ;   in Loop: Header=BB2_1054 Depth=4
	s_sleep 1
	s_cbranch_execnz .LBB2_1892
; %bb.1059:                             ;   in Loop: Header=BB2_1054 Depth=4
	ds_load_b64 v[8:9], v0
	s_and_not1_b32 s37, s37, exec_lo
	s_waitcnt lgkmcnt(0)
	v_cmp_ge_u64_e32 vcc_lo, v[8:9], v[12:13]
	s_or_not1_b32 vcc_lo, vcc_lo, exec_lo
	s_branch .LBB2_1053
.LBB2_1060:                             ;   in Loop: Header=BB2_866 Depth=3
	s_or_b32 exec_lo, exec_lo, s17
	s_and_saveexec_b32 s17, s36
	s_delay_alu instid0(SALU_CYCLE_1)
	s_xor_b32 s17, exec_lo, s17
	s_cbranch_execz .LBB2_1062
; %bb.1061:                             ;   in Loop: Header=BB2_866 Depth=3
	ds_store_b32 v0, v115
	s_cbranch_execnz .LBB2_1942
.LBB2_1062:                             ;   in Loop: Header=BB2_866 Depth=3
	s_or_b32 exec_lo, exec_lo, s16
	;;#ASMSTART
	s_wakeup
	;;#ASMEND
.LBB2_1063:                             ;   in Loop: Header=BB2_866 Depth=3
	s_or_b32 exec_lo, exec_lo, s15
.LBB2_1064:                             ;   in Loop: Header=BB2_866 Depth=3
	s_and_not1_saveexec_b32 s14, s14
	s_cbranch_execz .LBB2_1066
; %bb.1065:                             ;   in Loop: Header=BB2_866 Depth=3
	;;#ASMSTART
	s_waitcnt lgkmcnt(0) vmcnt(0)
	;;#ASMEND
	s_waitcnt lgkmcnt(0)
	s_waitcnt_vscnt null, 0x0
	s_barrier
.LBB2_1066:                             ;   in Loop: Header=BB2_866 Depth=3
	s_or_b32 exec_lo, exec_lo, s14
	v_and_b32_e32 v2, 16, v30
.LBB2_1067:                             ;   in Loop: Header=BB2_866 Depth=3
	s_or_b32 exec_lo, exec_lo, s13
	s_delay_alu instid0(VALU_DEP_1) | instskip(SKIP_1) | instid1(SALU_CYCLE_1)
	v_cmp_ne_u32_e32 vcc_lo, 0, v2
	s_xor_b32 s13, s10, -1
	s_and_b32 s14, vcc_lo, s13
	s_delay_alu instid0(SALU_CYCLE_1)
	s_and_saveexec_b32 s13, s14
	s_cbranch_execz .LBB2_1069
; %bb.1068:                             ;   in Loop: Header=BB2_866 Depth=3
	s_waitcnt lgkmcnt(0)
	s_waitcnt_vscnt null, 0x0
	flat_store_b32 v[26:27], v115
.LBB2_1069:                             ;   in Loop: Header=BB2_866 Depth=3
	s_or_b32 exec_lo, exec_lo, s13
	v_and_b32_e32 v2, 48, v30
	s_mov_b32 s13, exec_lo
	s_delay_alu instid0(VALU_DEP_1)
	v_cmpx_ne_u32_e32 0, v2
	s_cbranch_execz .LBB2_1071
; %bb.1070:                             ;   in Loop: Header=BB2_866 Depth=3
	v_add_co_u32 v22, vcc_lo, v22, 2
	v_add_co_ci_u32_e32 v23, vcc_lo, 0, v23, vcc_lo
	s_waitcnt lgkmcnt(0)
	s_waitcnt_vscnt null, 0x0
	flat_store_b64 v[20:21], v[22:23]
.LBB2_1071:                             ;   in Loop: Header=BB2_866 Depth=3
	s_or_b32 exec_lo, exec_lo, s13
	v_add_nc_u32_e32 v54, v50, v54
	s_xor_b32 s13, s34, -1
	v_mov_b32_e32 v2, s35
	s_mov_b32 s34, 0
	s_mov_b32 s35, 2
	v_cmp_ge_i32_e32 vcc_lo, v54, v53
	s_or_b32 s13, s13, vcc_lo
	s_delay_alu instid0(SALU_CYCLE_1) | instskip(NEXT) | instid1(SALU_CYCLE_1)
	s_and_b32 s13, exec_lo, s13
	s_or_b32 s31, s13, s31
	s_delay_alu instid0(SALU_CYCLE_1)
	s_and_not1_b32 exec_lo, exec_lo, s31
	s_cbranch_execnz .LBB2_866
; %bb.1072:                             ;   in Loop: Header=BB2_864 Depth=2
	s_or_b32 exec_lo, exec_lo, s31
.LBB2_1073:                             ;   in Loop: Header=BB2_864 Depth=2
	s_delay_alu instid0(SALU_CYCLE_1) | instskip(NEXT) | instid1(SALU_CYCLE_1)
	s_or_b32 exec_lo, exec_lo, s30
	s_mov_b32 s14, exec_lo
	v_cmpx_gt_i32_e32 2, v2
	s_cbranch_execz .LBB2_1157
; %bb.1074:                             ;   in Loop: Header=BB2_864 Depth=2
	v_cmp_eq_u32_e64 s13, 0, v2
	s_mov_b32 s15, 0
.LBB2_1075:                             ;   Parent Loop BB2_51 Depth=1
                                        ;     Parent Loop BB2_864 Depth=2
                                        ; =>    This Loop Header: Depth=3
                                        ;         Child Loop BB2_1081 Depth 4
                                        ;         Child Loop BB2_1111 Depth 4
	;; [unrolled: 1-line block ×3, first 2 shown]
	v_and_b32_e32 v2, 12, v30
	s_mov_b32 s17, -1
	s_mov_b32 s16, exec_lo
	s_delay_alu instid0(VALU_DEP_1)
	v_cmpx_ne_u32_e32 0, v2
	s_cbranch_execz .LBB2_1089
; %bb.1076:                             ;   in Loop: Header=BB2_1075 Depth=3
	v_and_b32_e32 v2, 8, v30
	s_delay_alu instid0(VALU_DEP_1) | instskip(SKIP_3) | instid1(VALU_DEP_1)
	v_add_co_u32 v10, vcc_lo, v28, v2
	v_add_co_ci_u32_e32 v11, vcc_lo, 0, v29, vcc_lo
	v_add_co_u32 v8, vcc_lo, v22, 2
	v_add_co_ci_u32_e32 v9, vcc_lo, 0, v23, vcc_lo
	v_cmp_lt_u64_e32 vcc_lo, v[10:11], v[8:9]
	v_mov_b32_e32 v10, 1
	s_and_saveexec_b32 s17, vcc_lo
	s_cbranch_execz .LBB2_1088
; %bb.1077:                             ;   in Loop: Header=BB2_1075 Depth=3
	v_mov_b32_e32 v10, 0
	s_mov_b32 s30, 0
                                        ; implicit-def: $sgpr31
	s_branch .LBB2_1081
.LBB2_1078:                             ;   in Loop: Header=BB2_1081 Depth=4
	s_or_b32 exec_lo, exec_lo, s37
	v_mov_b32_e32 v11, 0
	s_or_not1_b32 s36, s36, exec_lo
.LBB2_1079:                             ;   in Loop: Header=BB2_1081 Depth=4
	s_or_b32 exec_lo, exec_lo, s35
	s_delay_alu instid0(VALU_DEP_1) | instskip(SKIP_2) | instid1(SALU_CYCLE_1)
	v_mov_b32_e32 v10, v11
	s_and_not1_b32 vcc_lo, s31, exec_lo
	s_and_b32 s31, s36, exec_lo
	s_or_b32 s31, vcc_lo, s31
.LBB2_1080:                             ;   in Loop: Header=BB2_1081 Depth=4
	s_or_b32 exec_lo, exec_lo, s34
	s_waitcnt vmcnt(0) lgkmcnt(0)
	v_add_co_u32 v51, vcc_lo, v28, v2
	v_add_co_ci_u32_e32 v52, vcc_lo, 0, v29, vcc_lo
	s_xor_b32 s34, s31, -1
	s_delay_alu instid0(VALU_DEP_1) | instskip(SKIP_1) | instid1(SALU_CYCLE_1)
	v_cmp_ge_u64_e32 vcc_lo, v[51:52], v[8:9]
	s_or_b32 vcc_lo, s34, vcc_lo
	s_and_b32 vcc_lo, exec_lo, vcc_lo
	s_delay_alu instid0(SALU_CYCLE_1) | instskip(NEXT) | instid1(SALU_CYCLE_1)
	s_or_b32 s30, vcc_lo, s30
	s_and_not1_b32 exec_lo, exec_lo, s30
	s_cbranch_execz .LBB2_1087
.LBB2_1081:                             ;   Parent Loop BB2_51 Depth=1
                                        ;     Parent Loop BB2_864 Depth=2
                                        ;       Parent Loop BB2_1075 Depth=3
                                        ; =>      This Inner Loop Header: Depth=4
	s_sleep 1
	flat_load_b64 v[28:29], v[20:21] glc
	v_and_b32_e32 v11, 64, v30
	s_and_not1_b32 s31, s31, exec_lo
	s_mov_b32 s34, exec_lo
	s_delay_alu instid0(VALU_DEP_1)
	v_cmpx_eq_u32_e32 0, v11
	s_cbranch_execz .LBB2_1080
; %bb.1082:                             ;   in Loop: Header=BB2_1081 Depth=4
	v_add_nc_u32_e32 v11, 1, v10
	s_mov_b32 s36, -1
	s_mov_b32 s35, exec_lo
	v_cmpx_lt_i32_e32 0x270e, v10
	s_cbranch_execz .LBB2_1079
; %bb.1083:                             ;   in Loop: Header=BB2_1081 Depth=4
	s_cbranch_execnz .LBB2_1600
; %bb.1084:                             ;   in Loop: Header=BB2_1081 Depth=4
	ds_load_b64 v[10:11], v0
	s_mov_b32 s37, exec_lo
	s_waitcnt vmcnt(0) lgkmcnt(0)
	s_waitcnt_vscnt null, 0x0
	flat_load_b32 v10, v[10:11] glc
	s_waitcnt vmcnt(0) lgkmcnt(0)
	buffer_gl1_inv
	buffer_gl0_inv
	v_cmpx_ne_u32_e32 0, v10
	s_cbranch_execz .LBB2_1078
; %bb.1085:                             ;   in Loop: Header=BB2_1081 Depth=4
	ds_store_b32 v0, v10
	s_cbranch_execnz .LBB2_1684
; %bb.1086:                             ;   in Loop: Header=BB2_1081 Depth=4
	v_or_b32_e32 v30, 64, v30
	s_xor_b32 s36, exec_lo, -1
	s_branch .LBB2_1078
.LBB2_1087:                             ;   in Loop: Header=BB2_1075 Depth=3
	s_or_b32 exec_lo, exec_lo, s30
	v_and_b32_e32 v10, 12, v30
.LBB2_1088:                             ;   in Loop: Header=BB2_1075 Depth=3
	s_or_b32 exec_lo, exec_lo, s17
	s_delay_alu instid0(VALU_DEP_1)
	v_cmp_eq_u32_e32 vcc_lo, 0, v10
	;;#ASMSTART
	s_wakeup
	;;#ASMEND
	s_or_not1_b32 s17, vcc_lo, exec_lo
.LBB2_1089:                             ;   in Loop: Header=BB2_1075 Depth=3
	s_or_b32 exec_lo, exec_lo, s16
	v_sub_nc_u32_e32 v2, v53, v54
	s_xor_b32 s13, s13, -1
	s_delay_alu instid0(SALU_CYCLE_1) | instskip(NEXT) | instid1(SALU_CYCLE_1)
	s_and_b32 s13, exec_lo, s13
	s_or_b32 s15, s13, s15
	s_delay_alu instid0(VALU_DEP_1) | instskip(SKIP_1) | instid1(SALU_CYCLE_1)
	v_min_i32_e32 v50, v50, v2
	s_xor_b32 s13, s17, -1
	s_and_saveexec_b32 s16, s13
	s_cbranch_execz .LBB2_1102
; %bb.1090:                             ;   in Loop: Header=BB2_1075 Depth=3
	v_and_b32_e32 v2, 0x108, v30
	s_delay_alu instid0(VALU_DEP_1) | instskip(SKIP_2) | instid1(SALU_CYCLE_1)
	v_cmp_ne_u32_e32 vcc_lo, 0x108, v2
	v_and_b32_e32 v2, 7, v22
	s_and_saveexec_b32 s13, vcc_lo
	s_xor_b32 s13, exec_lo, s13
	s_delay_alu instid0(SALU_CYCLE_1)
	s_and_not1_saveexec_b32 s13, s13
	s_cbranch_execz .LBB2_1092
; %bb.1091:                             ;   in Loop: Header=BB2_1075 Depth=3
	v_mad_u64_u32 v[8:9], null, v2, 24, v[6:7]
	v_ashrrev_i32_e32 v51, 31, v50
	flat_store_b64 v[8:9], v[50:51] offset:8
.LBB2_1092:                             ;   in Loop: Header=BB2_1075 Depth=3
	s_or_b32 exec_lo, exec_lo, s13
	v_and_b32_e32 v8, 0x100, v30
	s_mov_b32 s13, -1
	s_delay_alu instid0(VALU_DEP_1)
	v_cmp_ne_u32_e32 vcc_lo, 0, v8
                                        ; implicit-def: $vgpr8_vgpr9
	s_and_saveexec_b32 s17, vcc_lo
	s_cbranch_execnz .LBB2_1095
; %bb.1093:                             ;   in Loop: Header=BB2_1075 Depth=3
	s_or_b32 exec_lo, exec_lo, s17
	s_and_saveexec_b32 s17, s13
	s_cbranch_execnz .LBB2_1098
.LBB2_1094:                             ;   in Loop: Header=BB2_1075 Depth=3
	s_or_b32 exec_lo, exec_lo, s17
	s_cbranch_execnz .LBB2_1590
	s_branch .LBB2_1099
.LBB2_1095:                             ;   in Loop: Header=BB2_1075 Depth=3
	v_mad_u64_u32 v[10:11], null, v2, 24, v[6:7]
	s_delay_alu instid0(VALU_DEP_1) | instskip(NEXT) | instid1(VALU_DEP_1)
	v_mov_b32_e32 v8, v11
	v_mad_u64_u32 v[51:52], null, v3, 24, v[8:9]
	s_delay_alu instid0(VALU_DEP_1) | instskip(SKIP_4) | instid1(VALU_DEP_1)
	v_mov_b32_e32 v11, v51
	flat_load_b32 v8, v[10:11]
	s_waitcnt vmcnt(0) lgkmcnt(0)
	v_cmp_ne_u32_e32 vcc_lo, 1, v8
	v_cmp_eq_u32_e64 s13, 1, v8
                                        ; implicit-def: $vgpr8_vgpr9
	s_and_saveexec_b32 s30, s13
	s_cbranch_execz .LBB2_1097
; %bb.1096:                             ;   in Loop: Header=BB2_1075 Depth=3
	flat_load_b32 v8, v[10:11] offset:4 glc
	s_waitcnt vmcnt(0) lgkmcnt(0)
	v_ashrrev_i32_e32 v9, 31, v8
.LBB2_1097:                             ;   in Loop: Header=BB2_1075 Depth=3
	s_or_b32 exec_lo, exec_lo, s30
	s_delay_alu instid0(SALU_CYCLE_1)
	s_or_not1_b32 s13, vcc_lo, exec_lo
	s_or_b32 exec_lo, exec_lo, s17
	s_and_saveexec_b32 s17, s13
	s_cbranch_execz .LBB2_1094
.LBB2_1098:                             ;   in Loop: Header=BB2_1075 Depth=3
	v_mul_lo_u32 v10, v3, v68
	v_mul_lo_u32 v11, v2, v70
	v_mad_u64_u32 v[8:9], null, v2, v68, 0
	s_delay_alu instid0(VALU_DEP_1)
	v_add3_u32 v9, v9, v11, v10
	s_or_b32 exec_lo, exec_lo, s17
	s_cbranch_execnz .LBB2_1590
.LBB2_1099:                             ;   in Loop: Header=BB2_1075 Depth=3
	s_delay_alu instid0(VALU_DEP_2)
	v_add_co_u32 v8, vcc_lo, v24, v8
	v_and_b32_e32 v2, 0x2000, v30
	v_add_co_ci_u32_e32 v9, vcc_lo, v25, v9, vcc_lo
	s_mov_b32 s13, exec_lo
	ds_store_b64 v0, v[8:9]
	v_cmpx_ne_u32_e32 0, v2
	s_cbranch_execz .LBB2_1101
; %bb.1100:                             ;   in Loop: Header=BB2_1075 Depth=3
	ds_load_b64 v[8:9], v0 offset:584
	s_waitcnt lgkmcnt(0)
	v_add_co_u32 v8, vcc_lo, v8, 1
	v_add_co_ci_u32_e32 v9, vcc_lo, 0, v9, vcc_lo
	ds_store_b64 v0, v[8:9] offset:584
.LBB2_1101:                             ;   in Loop: Header=BB2_1075 Depth=3
	s_or_b32 exec_lo, exec_lo, s13
	v_add_co_u32 v22, vcc_lo, v22, 2
	v_add_co_ci_u32_e32 v23, vcc_lo, 0, v23, vcc_lo
.LBB2_1102:                             ;   in Loop: Header=BB2_1075 Depth=3
	s_or_b32 exec_lo, exec_lo, s16
	s_and_saveexec_b32 s13, s3
	s_cbranch_execz .LBB2_1124
; %bb.1103:                             ;   in Loop: Header=BB2_1075 Depth=3
	s_and_saveexec_b32 s16, s4
	s_delay_alu instid0(SALU_CYCLE_1)
	s_xor_b32 s16, exec_lo, s16
	s_cbranch_execz .LBB2_1121
; %bb.1104:                             ;   in Loop: Header=BB2_1075 Depth=3
	s_and_saveexec_b32 s17, s1
	s_cbranch_execz .LBB2_1120
; %bb.1105:                             ;   in Loop: Header=BB2_1075 Depth=3
	s_mov_b32 s31, exec_lo
	s_mov_b32 s30, exec_lo
	v_mbcnt_lo_u32_b32 v2, s31, 0
	s_waitcnt lgkmcnt(0)
	s_waitcnt_vscnt null, 0x0
	buffer_gl1_inv
	buffer_gl0_inv
	v_cmpx_eq_u32_e32 0, v2
	s_cbranch_execz .LBB2_1107
; %bb.1106:                             ;   in Loop: Header=BB2_1075 Depth=3
	s_bcnt1_i32_b32 vcc_lo, s31
	s_delay_alu instid0(SALU_CYCLE_1)
	v_mov_b32_e32 v2, vcc_lo
	ds_add_u64 v0, v[2:3]
	s_cbranch_execnz .LBB2_1740
.LBB2_1107:                             ;   in Loop: Header=BB2_1075 Depth=3
	s_or_b32 exec_lo, exec_lo, s30
	s_cbranch_execnz .LBB2_1710
; %bb.1108:                             ;   in Loop: Header=BB2_1075 Depth=3
	ds_load_b64 v[8:9], v0
	v_add_co_u32 v12, vcc_lo, v12, v71
	v_add_co_ci_u32_e32 v13, vcc_lo, 0, v13, vcc_lo
	s_mov_b32 s30, exec_lo
	s_waitcnt lgkmcnt(0)
	s_delay_alu instid0(VALU_DEP_1)
	v_cmpx_lt_u64_e64 v[8:9], v[12:13]
	s_cbranch_execz .LBB2_1119
; %bb.1109:                             ;   in Loop: Header=BB2_1075 Depth=3
	s_mov_b32 s31, 0
	s_mov_b32 s36, 0
                                        ; implicit-def: $sgpr34
                                        ; implicit-def: $sgpr35
	s_branch .LBB2_1111
.LBB2_1110:                             ;   in Loop: Header=BB2_1111 Depth=4
	s_or_b32 exec_lo, exec_lo, s38
	s_delay_alu instid0(SALU_CYCLE_1) | instskip(NEXT) | instid1(SALU_CYCLE_1)
	s_and_b32 vcc_lo, exec_lo, vcc_lo
	s_or_b32 s31, vcc_lo, s31
	s_and_not1_b32 vcc_lo, s34, exec_lo
	s_and_b32 s34, s35, exec_lo
	s_delay_alu instid0(SALU_CYCLE_1)
	s_or_b32 s34, vcc_lo, s34
	s_and_not1_b32 exec_lo, exec_lo, s31
	s_cbranch_execz .LBB2_1117
.LBB2_1111:                             ;   Parent Loop BB2_51 Depth=1
                                        ;     Parent Loop BB2_864 Depth=2
                                        ;       Parent Loop BB2_1075 Depth=3
                                        ; =>      This Inner Loop Header: Depth=4
	s_add_i32 s36, s36, 1
                                        ; implicit-def: $sgpr38
	s_delay_alu instid0(SALU_CYCLE_1) | instskip(SKIP_1) | instid1(SALU_CYCLE_1)
	s_cmpk_lg_i32 s36, 0x2710
	s_cselect_b32 s37, -1, 0
	s_and_b32 vcc_lo, exec_lo, s37
	s_cbranch_vccz .LBB2_1115
.LBB2_1112:                             ;   in Loop: Header=BB2_1111 Depth=4
	s_and_not1_b32 s35, s35, exec_lo
	s_and_b32 s38, s38, exec_lo
	s_mov_b32 vcc_lo, -1
	s_or_b32 s35, s35, s38
	s_and_saveexec_b32 s38, s37
	s_cbranch_execz .LBB2_1110
; %bb.1113:                             ;   in Loop: Header=BB2_1111 Depth=4
	s_sleep 1
	s_cbranch_execnz .LBB2_1792
; %bb.1114:                             ;   in Loop: Header=BB2_1111 Depth=4
	ds_load_b64 v[8:9], v0
	s_and_not1_b32 s35, s35, exec_lo
	s_waitcnt lgkmcnt(0)
	v_cmp_ge_u64_e32 vcc_lo, v[8:9], v[12:13]
	s_or_not1_b32 vcc_lo, vcc_lo, exec_lo
	s_branch .LBB2_1110
.LBB2_1115:                             ;   in Loop: Header=BB2_1111 Depth=4
	s_cbranch_execnz .LBB2_1808
; %bb.1116:                             ;   in Loop: Header=BB2_1111 Depth=4
	ds_load_b64 v[8:9], v0
	s_and_not1_b32 s37, s37, exec_lo
	s_mov_b32 s36, 0
	s_mov_b32 s38, -1
	s_waitcnt lgkmcnt(0)
	flat_load_b32 v2, v[8:9] glc
	s_waitcnt vmcnt(0) lgkmcnt(0)
	buffer_gl1_inv
	buffer_gl0_inv
	v_cmp_eq_u32_e32 vcc_lo, 0, v2
	s_and_b32 vcc_lo, vcc_lo, exec_lo
	s_delay_alu instid0(SALU_CYCLE_1)
	s_or_b32 s37, s37, vcc_lo
	s_branch .LBB2_1112
.LBB2_1117:                             ;   in Loop: Header=BB2_1075 Depth=3
	s_or_b32 exec_lo, exec_lo, s31
	s_and_saveexec_b32 vcc_lo, s34
	s_delay_alu instid0(SALU_CYCLE_1)
	s_xor_b32 vcc_lo, exec_lo, vcc_lo
	s_cbranch_execz .LBB2_1119
; %bb.1118:                             ;   in Loop: Header=BB2_1075 Depth=3
	ds_store_b32 v0, v115
	s_cbranch_execnz .LBB2_1922
.LBB2_1119:                             ;   in Loop: Header=BB2_1075 Depth=3
	s_or_b32 exec_lo, exec_lo, s30
	;;#ASMSTART
	s_wakeup
	;;#ASMEND
.LBB2_1120:                             ;   in Loop: Header=BB2_1075 Depth=3
	s_or_b32 exec_lo, exec_lo, s17
.LBB2_1121:                             ;   in Loop: Header=BB2_1075 Depth=3
	s_and_not1_saveexec_b32 s16, s16
	s_cbranch_execz .LBB2_1123
; %bb.1122:                             ;   in Loop: Header=BB2_1075 Depth=3
	s_waitcnt lgkmcnt(0)
	s_waitcnt_vscnt null, 0x0
	buffer_gl1_inv
	buffer_gl0_inv
	s_barrier
.LBB2_1123:                             ;   in Loop: Header=BB2_1075 Depth=3
	s_or_b32 exec_lo, exec_lo, s16
.LBB2_1124:                             ;   in Loop: Header=BB2_1075 Depth=3
	s_delay_alu instid0(SALU_CYCLE_1) | instskip(SKIP_1) | instid1(SALU_CYCLE_1)
	s_or_b32 exec_lo, exec_lo, s13
                                        ; implicit-def: $vgpr2
	s_and_saveexec_b32 s13, s7
	s_xor_b32 s16, exec_lo, s13
	s_cbranch_execz .LBB2_1129
; %bb.1125:                             ;   in Loop: Header=BB2_1075 Depth=3
	s_cbranch_execnz .LBB2_1622
; %bb.1126:                             ;   in Loop: Header=BB2_1075 Depth=3
	ds_load_b32 v2, v0
	v_cmp_lt_i32_e32 vcc_lo, 0, v50
	s_waitcnt lgkmcnt(0)
	v_readfirstlane_b32 s13, v2
	v_and_b32_e32 v2, 16, v30
	s_delay_alu instid0(VALU_DEP_2) | instskip(NEXT) | instid1(VALU_DEP_1)
	s_cmp_eq_u32 s13, 0
	v_cmp_ne_u32_e64 s13, 0, v2
	s_cselect_b32 s17, -1, 0
	v_and_b32_e32 v2, 16, v30
	s_and_b32 s17, vcc_lo, s17
	s_delay_alu instid0(VALU_DEP_2) | instid1(SALU_CYCLE_1)
	s_and_b32 s17, s13, s17
	s_delay_alu instid0(SALU_CYCLE_1)
	s_and_saveexec_b32 s13, s17
	s_cbranch_execz .LBB2_1128
; %bb.1127:                             ;   in Loop: Header=BB2_1075 Depth=3
	v_mov_b32_e32 v2, 1
	s_waitcnt_vscnt null, 0x0
	buffer_gl1_inv
	buffer_gl0_inv
.LBB2_1128:                             ;   in Loop: Header=BB2_1075 Depth=3
	s_or_b32 exec_lo, exec_lo, s13
.LBB2_1129:                             ;   in Loop: Header=BB2_1075 Depth=3
	s_and_not1_saveexec_b32 s13, s16
	s_cbranch_execz .LBB2_1151
; %bb.1130:                             ;   in Loop: Header=BB2_1075 Depth=3
	s_and_saveexec_b32 s16, s4
	s_delay_alu instid0(SALU_CYCLE_1)
	s_xor_b32 s16, exec_lo, s16
	s_cbranch_execz .LBB2_1148
; %bb.1131:                             ;   in Loop: Header=BB2_1075 Depth=3
	s_and_saveexec_b32 s17, s1
	s_cbranch_execz .LBB2_1147
; %bb.1132:                             ;   in Loop: Header=BB2_1075 Depth=3
	s_mov_b32 s31, exec_lo
	s_mov_b32 s30, exec_lo
	v_mbcnt_lo_u32_b32 v2, s31, 0
	;;#ASMSTART
	s_waitcnt lgkmcnt(0) vmcnt(0)
	;;#ASMEND
	s_delay_alu instid0(VALU_DEP_1)
	v_cmpx_eq_u32_e32 0, v2
	s_cbranch_execz .LBB2_1134
; %bb.1133:                             ;   in Loop: Header=BB2_1075 Depth=3
	s_bcnt1_i32_b32 vcc_lo, s31
	s_delay_alu instid0(SALU_CYCLE_1)
	v_mov_b32_e32 v2, vcc_lo
	ds_add_u64 v0, v[2:3]
	s_cbranch_execnz .LBB2_1762
.LBB2_1134:                             ;   in Loop: Header=BB2_1075 Depth=3
	s_or_b32 exec_lo, exec_lo, s30
	s_cbranch_execnz .LBB2_1738
; %bb.1135:                             ;   in Loop: Header=BB2_1075 Depth=3
	ds_load_b64 v[8:9], v0
	v_add_co_u32 v12, vcc_lo, v12, v71
	v_add_co_ci_u32_e32 v13, vcc_lo, 0, v13, vcc_lo
	s_mov_b32 s30, exec_lo
	s_waitcnt lgkmcnt(0)
	s_delay_alu instid0(VALU_DEP_1)
	v_cmpx_lt_u64_e64 v[8:9], v[12:13]
	s_cbranch_execz .LBB2_1146
; %bb.1136:                             ;   in Loop: Header=BB2_1075 Depth=3
	s_mov_b32 s31, 0
	s_mov_b32 s36, 0
                                        ; implicit-def: $sgpr34
                                        ; implicit-def: $sgpr35
	s_branch .LBB2_1138
.LBB2_1137:                             ;   in Loop: Header=BB2_1138 Depth=4
	s_or_b32 exec_lo, exec_lo, s38
	s_delay_alu instid0(SALU_CYCLE_1) | instskip(NEXT) | instid1(SALU_CYCLE_1)
	s_and_b32 vcc_lo, exec_lo, vcc_lo
	s_or_b32 s31, vcc_lo, s31
	s_and_not1_b32 vcc_lo, s34, exec_lo
	s_and_b32 s34, s35, exec_lo
	s_delay_alu instid0(SALU_CYCLE_1)
	s_or_b32 s34, vcc_lo, s34
	s_and_not1_b32 exec_lo, exec_lo, s31
	s_cbranch_execz .LBB2_1144
.LBB2_1138:                             ;   Parent Loop BB2_51 Depth=1
                                        ;     Parent Loop BB2_864 Depth=2
                                        ;       Parent Loop BB2_1075 Depth=3
                                        ; =>      This Inner Loop Header: Depth=4
	s_add_i32 s36, s36, 1
                                        ; implicit-def: $sgpr38
	s_delay_alu instid0(SALU_CYCLE_1) | instskip(SKIP_1) | instid1(SALU_CYCLE_1)
	s_cmpk_lg_i32 s36, 0x2710
	s_cselect_b32 s37, -1, 0
	s_and_b32 vcc_lo, exec_lo, s37
	s_cbranch_vccz .LBB2_1142
.LBB2_1139:                             ;   in Loop: Header=BB2_1138 Depth=4
	s_and_not1_b32 s35, s35, exec_lo
	s_and_b32 s38, s38, exec_lo
	s_mov_b32 vcc_lo, -1
	s_or_b32 s35, s35, s38
	s_and_saveexec_b32 s38, s37
	s_cbranch_execz .LBB2_1137
; %bb.1140:                             ;   in Loop: Header=BB2_1138 Depth=4
	s_sleep 1
	s_cbranch_execnz .LBB2_1818
; %bb.1141:                             ;   in Loop: Header=BB2_1138 Depth=4
	ds_load_b64 v[8:9], v0
	s_and_not1_b32 s35, s35, exec_lo
	s_waitcnt lgkmcnt(0)
	v_cmp_ge_u64_e32 vcc_lo, v[8:9], v[12:13]
	s_or_not1_b32 vcc_lo, vcc_lo, exec_lo
	s_branch .LBB2_1137
.LBB2_1142:                             ;   in Loop: Header=BB2_1138 Depth=4
	s_cbranch_execnz .LBB2_1830
; %bb.1143:                             ;   in Loop: Header=BB2_1138 Depth=4
	ds_load_b64 v[8:9], v0
	s_and_not1_b32 s37, s37, exec_lo
	s_mov_b32 s36, 0
	s_mov_b32 s38, -1
	s_waitcnt lgkmcnt(0)
	s_waitcnt_vscnt null, 0x0
	flat_load_b32 v2, v[8:9] glc
	s_waitcnt vmcnt(0) lgkmcnt(0)
	buffer_gl1_inv
	buffer_gl0_inv
	v_cmp_eq_u32_e32 vcc_lo, 0, v2
	s_and_b32 vcc_lo, vcc_lo, exec_lo
	s_delay_alu instid0(SALU_CYCLE_1)
	s_or_b32 s37, s37, vcc_lo
	s_branch .LBB2_1139
.LBB2_1144:                             ;   in Loop: Header=BB2_1075 Depth=3
	s_or_b32 exec_lo, exec_lo, s31
	s_and_saveexec_b32 vcc_lo, s34
	s_delay_alu instid0(SALU_CYCLE_1)
	s_xor_b32 vcc_lo, exec_lo, vcc_lo
	s_cbranch_execz .LBB2_1146
; %bb.1145:                             ;   in Loop: Header=BB2_1075 Depth=3
	ds_store_b32 v0, v115
	s_cbranch_execnz .LBB2_1930
.LBB2_1146:                             ;   in Loop: Header=BB2_1075 Depth=3
	s_or_b32 exec_lo, exec_lo, s30
	;;#ASMSTART
	s_wakeup
	;;#ASMEND
.LBB2_1147:                             ;   in Loop: Header=BB2_1075 Depth=3
	s_or_b32 exec_lo, exec_lo, s17
.LBB2_1148:                             ;   in Loop: Header=BB2_1075 Depth=3
	s_and_not1_saveexec_b32 s16, s16
	s_cbranch_execz .LBB2_1150
; %bb.1149:                             ;   in Loop: Header=BB2_1075 Depth=3
	;;#ASMSTART
	s_waitcnt lgkmcnt(0) vmcnt(0)
	;;#ASMEND
	s_waitcnt lgkmcnt(0)
	s_waitcnt_vscnt null, 0x0
	s_barrier
.LBB2_1150:                             ;   in Loop: Header=BB2_1075 Depth=3
	s_or_b32 exec_lo, exec_lo, s16
	v_and_b32_e32 v2, 16, v30
.LBB2_1151:                             ;   in Loop: Header=BB2_1075 Depth=3
	s_or_b32 exec_lo, exec_lo, s13
	s_delay_alu instid0(VALU_DEP_1) | instskip(SKIP_1) | instid1(SALU_CYCLE_1)
	v_cmp_ne_u32_e32 vcc_lo, 0, v2
	s_xor_b32 s13, s10, -1
	s_and_b32 s16, vcc_lo, s13
	s_delay_alu instid0(SALU_CYCLE_1)
	s_and_saveexec_b32 s13, s16
	s_cbranch_execz .LBB2_1153
; %bb.1152:                             ;   in Loop: Header=BB2_1075 Depth=3
	s_waitcnt lgkmcnt(0)
	s_waitcnt_vscnt null, 0x0
	flat_store_b32 v[26:27], v115
.LBB2_1153:                             ;   in Loop: Header=BB2_1075 Depth=3
	s_or_b32 exec_lo, exec_lo, s13
	v_and_b32_e32 v2, 48, v30
	s_mov_b32 s13, exec_lo
	s_delay_alu instid0(VALU_DEP_1)
	v_cmpx_ne_u32_e32 0, v2
	s_cbranch_execz .LBB2_1155
; %bb.1154:                             ;   in Loop: Header=BB2_1075 Depth=3
	v_add_co_u32 v22, vcc_lo, v22, 2
	v_add_co_ci_u32_e32 v23, vcc_lo, 0, v23, vcc_lo
	s_waitcnt lgkmcnt(0)
	s_waitcnt_vscnt null, 0x0
	flat_store_b64 v[20:21], v[22:23]
.LBB2_1155:                             ;   in Loop: Header=BB2_1075 Depth=3
	s_or_b32 exec_lo, exec_lo, s13
	v_add_nc_u32_e32 v54, v50, v54
	s_mov_b32 s13, 0
	s_and_not1_b32 exec_lo, exec_lo, s15
	s_cbranch_execnz .LBB2_1075
; %bb.1156:                             ;   in Loop: Header=BB2_864 Depth=2
	s_or_b32 exec_lo, exec_lo, s15
.LBB2_1157:                             ;   in Loop: Header=BB2_864 Depth=2
	s_delay_alu instid0(SALU_CYCLE_1)
	s_or_b32 exec_lo, exec_lo, s14
	s_add_i32 s13, s28, 1
	s_cmp_eq_u32 s28, s22
	s_cbranch_scc0 .LBB2_864
.LBB2_1158:                             ;   in Loop: Header=BB2_51 Depth=1
	s_mov_b32 s13, s26
	v_mul_lo_u32 v10, v38, vcc_hi
	v_mul_lo_u32 v2, v39, s13
	v_mad_u64_u32 v[8:9], null, v38, s13, 0
	v_mov_b32_e32 v50, 0
	s_mov_b32 s16, 0
	s_delay_alu instid0(VALU_DEP_2) | instskip(NEXT) | instid1(VALU_DEP_3)
	v_add3_u32 v9, v9, v10, v2
	v_sub_co_u32 v10, vcc_lo, v48, v8
	s_delay_alu instid0(VALU_DEP_2) | instskip(NEXT) | instid1(VALU_DEP_1)
	v_sub_co_ci_u32_e32 v11, vcc_lo, v49, v9, vcc_lo
	v_cmp_lt_i64_e32 vcc_lo, v[38:39], v[10:11]
	v_cndmask_b32_e32 v10, v10, v38, vcc_lo
	s_delay_alu instid0(VALU_DEP_1) | instskip(SKIP_1) | instid1(VALU_DEP_2)
	v_max_i32_e32 v48, 0, v10
	v_cmp_lt_i32_e32 vcc_lo, 0, v10
	v_add_nc_u32_e32 v2, 31, v48
	s_and_b32 s13, s27, vcc_lo
	s_delay_alu instid0(VALU_DEP_1) | instskip(NEXT) | instid1(VALU_DEP_1)
	v_lshrrev_b32_e32 v2, 1, v2
	v_dual_mov_b32 v2, 0 :: v_dual_and_b32 v11, 0x3ffffff0, v2
	s_delay_alu instid0(VALU_DEP_1)
	v_max_i32_e32 v49, s25, v11
	s_and_saveexec_b32 s15, s13
	s_cbranch_execz .LBB2_1319
; %bb.1159:                             ;   in Loop: Header=BB2_51 Depth=1
	v_add_co_u32 v51, vcc_lo, v8, v116
	v_add_co_ci_u32_e32 v52, vcc_lo, v9, v117, vcc_lo
	v_mov_b32_e32 v50, 0
	s_mov_b32 s28, 1
	s_mov_b32 s17, -1
.LBB2_1160:                             ;   Parent Loop BB2_51 Depth=1
                                        ; =>  This Loop Header: Depth=2
                                        ;       Child Loop BB2_1169 Depth 3
                                        ;       Child Loop BB2_1196 Depth 3
	;; [unrolled: 1-line block ×9, first 2 shown]
	s_and_saveexec_b32 s14, s0
	s_cbranch_execz .LBB2_1163
; %bb.1161:                             ;   in Loop: Header=BB2_1160 Depth=2
	s_cbranch_execnz .LBB2_1574
; %bb.1162:                             ;   in Loop: Header=BB2_1160 Depth=2
	ds_load_b128 v[8:11], v0
	v_ashrrev_i32_e32 v2, 31, v50
	s_waitcnt lgkmcnt(0)
	v_add_co_u32 v53, vcc_lo, v10, v51
	v_add_co_ci_u32_e32 v54, vcc_lo, v11, v52, vcc_lo
	v_add_co_u32 v8, vcc_lo, v8, v51
	v_add_co_ci_u32_e32 v9, vcc_lo, v9, v52, vcc_lo
	s_delay_alu instid0(VALU_DEP_4) | instskip(NEXT) | instid1(VALU_DEP_4)
	v_add_co_u32 v53, vcc_lo, v53, v50
	v_add_co_ci_u32_e32 v54, vcc_lo, v54, v2, vcc_lo
	v_cmp_ne_u64_e32 vcc_lo, 0, v[10:11]
	v_add_co_u32 v8, s13, v8, v50
	s_delay_alu instid0(VALU_DEP_1) | instskip(NEXT) | instid1(VALU_DEP_4)
	v_add_co_ci_u32_e64 v9, s13, v9, v2, s13
	v_dual_cndmask_b32 v11, 0, v54 :: v_dual_cndmask_b32 v10, 0, v53
	ds_store_b64 v0, v[8:9]
	ds_store_b64 v0, v[10:11]
.LBB2_1163:                             ;   in Loop: Header=BB2_1160 Depth=2
	s_or_b32 exec_lo, exec_lo, s14
	v_and_b32_e32 v2, 4, v30
	s_mov_b32 s14, -1
	s_mov_b32 s13, exec_lo
	s_delay_alu instid0(VALU_DEP_1)
	v_cmpx_ne_u32_e32 0, v2
	s_cbranch_execz .LBB2_1177
; %bb.1164:                             ;   in Loop: Header=BB2_1160 Depth=2
	v_add_co_u32 v8, vcc_lo, v22, 2
	v_add_co_ci_u32_e32 v9, vcc_lo, 0, v23, vcc_lo
	v_mov_b32_e32 v2, 1
	s_mov_b32 s14, exec_lo
	s_delay_alu instid0(VALU_DEP_2)
	v_cmpx_lt_u64_e64 v[28:29], v[8:9]
	s_cbranch_execz .LBB2_1176
; %bb.1165:                             ;   in Loop: Header=BB2_1160 Depth=2
	v_mov_b32_e32 v2, 0
	s_mov_b32 s30, 0
                                        ; implicit-def: $sgpr31
	s_branch .LBB2_1169
.LBB2_1166:                             ;   in Loop: Header=BB2_1169 Depth=3
	s_or_b32 exec_lo, exec_lo, s37
	v_mov_b32_e32 v10, 0
	s_or_not1_b32 s36, s36, exec_lo
.LBB2_1167:                             ;   in Loop: Header=BB2_1169 Depth=3
	s_or_b32 exec_lo, exec_lo, s35
	s_delay_alu instid0(VALU_DEP_1) | instskip(SKIP_2) | instid1(SALU_CYCLE_1)
	v_mov_b32_e32 v2, v10
	s_and_not1_b32 vcc_lo, s31, exec_lo
	s_and_b32 s31, s36, exec_lo
	s_or_b32 s31, vcc_lo, s31
.LBB2_1168:                             ;   in Loop: Header=BB2_1169 Depth=3
	s_or_b32 exec_lo, exec_lo, s34
	s_waitcnt vmcnt(0) lgkmcnt(0)
	v_cmp_ge_u64_e32 vcc_lo, v[28:29], v[8:9]
	s_xor_b32 s34, s31, -1
	s_delay_alu instid0(SALU_CYCLE_1) | instskip(NEXT) | instid1(SALU_CYCLE_1)
	s_or_b32 vcc_lo, s34, vcc_lo
	s_and_b32 vcc_lo, exec_lo, vcc_lo
	s_delay_alu instid0(SALU_CYCLE_1) | instskip(NEXT) | instid1(SALU_CYCLE_1)
	s_or_b32 s30, vcc_lo, s30
	s_and_not1_b32 exec_lo, exec_lo, s30
	s_cbranch_execz .LBB2_1175
.LBB2_1169:                             ;   Parent Loop BB2_51 Depth=1
                                        ;     Parent Loop BB2_1160 Depth=2
                                        ; =>    This Inner Loop Header: Depth=3
	s_sleep 1
	flat_load_b64 v[28:29], v[20:21] glc
	v_and_b32_e32 v10, 64, v30
	s_and_not1_b32 s31, s31, exec_lo
	s_mov_b32 s34, exec_lo
	s_delay_alu instid0(VALU_DEP_1)
	v_cmpx_eq_u32_e32 0, v10
	s_cbranch_execz .LBB2_1168
; %bb.1170:                             ;   in Loop: Header=BB2_1169 Depth=3
	v_add_nc_u32_e32 v10, 1, v2
	s_mov_b32 s36, -1
	s_mov_b32 s35, exec_lo
	v_cmpx_lt_i32_e32 0x270e, v2
	s_cbranch_execz .LBB2_1167
; %bb.1171:                             ;   in Loop: Header=BB2_1169 Depth=3
	s_cbranch_execnz .LBB2_1618
; %bb.1172:                             ;   in Loop: Header=BB2_1169 Depth=3
	ds_load_b64 v[10:11], v0
	s_mov_b32 s37, exec_lo
	s_waitcnt vmcnt(0) lgkmcnt(0)
	s_waitcnt_vscnt null, 0x0
	flat_load_b32 v2, v[10:11] glc
	s_waitcnt vmcnt(0) lgkmcnt(0)
	buffer_gl1_inv
	buffer_gl0_inv
	v_cmpx_ne_u32_e32 0, v2
	s_cbranch_execz .LBB2_1166
; %bb.1173:                             ;   in Loop: Header=BB2_1169 Depth=3
	ds_store_b32 v0, v2
	s_cbranch_execnz .LBB2_1696
; %bb.1174:                             ;   in Loop: Header=BB2_1169 Depth=3
	v_or_b32_e32 v30, 64, v30
	s_xor_b32 s36, exec_lo, -1
	s_branch .LBB2_1166
.LBB2_1175:                             ;   in Loop: Header=BB2_1160 Depth=2
	s_or_b32 exec_lo, exec_lo, s30
	v_and_b32_e32 v2, 4, v30
.LBB2_1176:                             ;   in Loop: Header=BB2_1160 Depth=2
	s_or_b32 exec_lo, exec_lo, s14
	s_delay_alu instid0(VALU_DEP_1)
	v_cmp_eq_u32_e32 vcc_lo, 0, v2
	;;#ASMSTART
	s_wakeup
	;;#ASMEND
	s_or_not1_b32 s14, vcc_lo, exec_lo
.LBB2_1177:                             ;   in Loop: Header=BB2_1160 Depth=2
	s_or_b32 exec_lo, exec_lo, s13
	s_xor_b32 s13, s14, -1
	s_delay_alu instid0(SALU_CYCLE_1)
	s_and_saveexec_b32 s14, s13
	s_cbranch_execz .LBB2_1187
; %bb.1178:                             ;   in Loop: Header=BB2_1160 Depth=2
	v_and_b32_e32 v2, 0x100, v30
	s_mov_b32 s13, -1
                                        ; implicit-def: $vgpr8_vgpr9
	s_delay_alu instid0(VALU_DEP_1)
	v_cmp_ne_u32_e32 vcc_lo, 0, v2
	v_and_b32_e32 v2, 7, v22
	s_and_saveexec_b32 s30, vcc_lo
	s_cbranch_execz .LBB2_1182
; %bb.1179:                             ;   in Loop: Header=BB2_1160 Depth=2
	s_delay_alu instid0(VALU_DEP_1) | instskip(SKIP_4) | instid1(VALU_DEP_1)
	v_mad_u64_u32 v[10:11], null, v2, 24, v[6:7]
	flat_load_b32 v8, v[10:11]
	s_waitcnt vmcnt(0) lgkmcnt(0)
	v_cmp_ne_u32_e32 vcc_lo, 1, v8
	v_cmp_eq_u32_e64 s13, 1, v8
                                        ; implicit-def: $vgpr8_vgpr9
	s_and_saveexec_b32 s31, s13
	s_cbranch_execz .LBB2_1181
; %bb.1180:                             ;   in Loop: Header=BB2_1160 Depth=2
	flat_load_b32 v8, v[10:11] offset:4 glc
	s_waitcnt vmcnt(0) lgkmcnt(0)
	v_ashrrev_i32_e32 v9, 31, v8
.LBB2_1181:                             ;   in Loop: Header=BB2_1160 Depth=2
	s_or_b32 exec_lo, exec_lo, s31
	s_delay_alu instid0(SALU_CYCLE_1)
	s_or_not1_b32 s13, vcc_lo, exec_lo
.LBB2_1182:                             ;   in Loop: Header=BB2_1160 Depth=2
	s_or_b32 exec_lo, exec_lo, s30
	s_and_saveexec_b32 vcc_lo, s13
; %bb.1183:                             ;   in Loop: Header=BB2_1160 Depth=2
	v_mad_i64_i32 v[8:9], null, v2, v68, 0
; %bb.1184:                             ;   in Loop: Header=BB2_1160 Depth=2
	s_or_b32 exec_lo, exec_lo, vcc_lo
	s_delay_alu instid0(VALU_DEP_1) | instskip(SKIP_1) | instid1(VALU_DEP_3)
	v_add_co_u32 v8, vcc_lo, v24, v8
	v_and_b32_e32 v2, 0x2000, v30
	v_add_co_ci_u32_e32 v9, vcc_lo, v25, v9, vcc_lo
	s_mov_b32 s13, exec_lo
	ds_store_b64 v0, v[8:9] offset:720
	v_cmpx_ne_u32_e32 0, v2
	s_cbranch_execz .LBB2_1186
; %bb.1185:                             ;   in Loop: Header=BB2_1160 Depth=2
	ds_load_b64 v[8:9], v0 offset:584
	s_waitcnt lgkmcnt(0)
	v_add_co_u32 v8, vcc_lo, v8, 1
	v_add_co_ci_u32_e32 v9, vcc_lo, 0, v9, vcc_lo
	ds_store_b64 v0, v[8:9] offset:584
.LBB2_1186:                             ;   in Loop: Header=BB2_1160 Depth=2
	s_or_b32 exec_lo, exec_lo, s13
	v_add_co_u32 v22, vcc_lo, v22, 2
	v_add_co_ci_u32_e32 v23, vcc_lo, 0, v23, vcc_lo
.LBB2_1187:                             ;   in Loop: Header=BB2_1160 Depth=2
	s_or_b32 exec_lo, exec_lo, s14
	s_and_saveexec_b32 s13, s3
	s_cbranch_execz .LBB2_1209
; %bb.1188:                             ;   in Loop: Header=BB2_1160 Depth=2
	s_and_saveexec_b32 s14, s4
	s_delay_alu instid0(SALU_CYCLE_1)
	s_xor_b32 s14, exec_lo, s14
	s_cbranch_execz .LBB2_1206
; %bb.1189:                             ;   in Loop: Header=BB2_1160 Depth=2
	s_and_saveexec_b32 s30, s1
	s_cbranch_execz .LBB2_1205
; %bb.1190:                             ;   in Loop: Header=BB2_1160 Depth=2
	s_mov_b32 s34, exec_lo
	s_mov_b32 s31, exec_lo
	v_mbcnt_lo_u32_b32 v2, s34, 0
	s_waitcnt lgkmcnt(0)
	s_waitcnt_vscnt null, 0x0
	buffer_gl1_inv
	buffer_gl0_inv
	v_cmpx_eq_u32_e32 0, v2
	s_cbranch_execz .LBB2_1192
; %bb.1191:                             ;   in Loop: Header=BB2_1160 Depth=2
	s_bcnt1_i32_b32 vcc_lo, s34
	s_delay_alu instid0(SALU_CYCLE_1)
	v_mov_b32_e32 v2, vcc_lo
	ds_add_u64 v0, v[2:3]
	s_cbranch_execnz .LBB2_1732
.LBB2_1192:                             ;   in Loop: Header=BB2_1160 Depth=2
	s_or_b32 exec_lo, exec_lo, s31
	s_cbranch_execnz .LBB2_1704
; %bb.1193:                             ;   in Loop: Header=BB2_1160 Depth=2
	ds_load_b64 v[8:9], v0
	v_add_co_u32 v12, vcc_lo, v12, v71
	v_add_co_ci_u32_e32 v13, vcc_lo, 0, v13, vcc_lo
	s_mov_b32 s31, exec_lo
	s_waitcnt lgkmcnt(0)
	s_delay_alu instid0(VALU_DEP_1)
	v_cmpx_lt_u64_e64 v[8:9], v[12:13]
	s_cbranch_execz .LBB2_1204
; %bb.1194:                             ;   in Loop: Header=BB2_1160 Depth=2
	s_mov_b32 s34, 0
	s_mov_b32 s37, 0
                                        ; implicit-def: $sgpr35
                                        ; implicit-def: $sgpr36
	s_branch .LBB2_1196
.LBB2_1195:                             ;   in Loop: Header=BB2_1196 Depth=3
	s_or_b32 exec_lo, exec_lo, s39
	s_delay_alu instid0(SALU_CYCLE_1) | instskip(NEXT) | instid1(SALU_CYCLE_1)
	s_and_b32 vcc_lo, exec_lo, vcc_lo
	s_or_b32 s34, vcc_lo, s34
	s_and_not1_b32 vcc_lo, s35, exec_lo
	s_and_b32 s35, s36, exec_lo
	s_delay_alu instid0(SALU_CYCLE_1)
	s_or_b32 s35, vcc_lo, s35
	s_and_not1_b32 exec_lo, exec_lo, s34
	s_cbranch_execz .LBB2_1202
.LBB2_1196:                             ;   Parent Loop BB2_51 Depth=1
                                        ;     Parent Loop BB2_1160 Depth=2
                                        ; =>    This Inner Loop Header: Depth=3
	s_add_i32 s37, s37, 1
                                        ; implicit-def: $sgpr39
	s_delay_alu instid0(SALU_CYCLE_1) | instskip(SKIP_1) | instid1(SALU_CYCLE_1)
	s_cmpk_lg_i32 s37, 0x2710
	s_cselect_b32 s38, -1, 0
	s_and_b32 vcc_lo, exec_lo, s38
	s_cbranch_vccz .LBB2_1200
.LBB2_1197:                             ;   in Loop: Header=BB2_1196 Depth=3
	s_and_not1_b32 s36, s36, exec_lo
	s_and_b32 s39, s39, exec_lo
	s_mov_b32 vcc_lo, -1
	s_or_b32 s36, s36, s39
	s_and_saveexec_b32 s39, s38
	s_cbranch_execz .LBB2_1195
; %bb.1198:                             ;   in Loop: Header=BB2_1196 Depth=3
	s_sleep 1
	s_cbranch_execnz .LBB2_1784
; %bb.1199:                             ;   in Loop: Header=BB2_1196 Depth=3
	ds_load_b64 v[8:9], v0
	s_and_not1_b32 s36, s36, exec_lo
	s_waitcnt lgkmcnt(0)
	v_cmp_ge_u64_e32 vcc_lo, v[8:9], v[12:13]
	s_or_not1_b32 vcc_lo, vcc_lo, exec_lo
	s_branch .LBB2_1195
.LBB2_1200:                             ;   in Loop: Header=BB2_1196 Depth=3
	s_cbranch_execnz .LBB2_1798
; %bb.1201:                             ;   in Loop: Header=BB2_1196 Depth=3
	ds_load_b64 v[8:9], v0
	s_and_not1_b32 s38, s38, exec_lo
	s_mov_b32 s37, 0
	s_mov_b32 s39, -1
	s_waitcnt lgkmcnt(0)
	flat_load_b32 v2, v[8:9] glc
	s_waitcnt vmcnt(0) lgkmcnt(0)
	buffer_gl1_inv
	buffer_gl0_inv
	v_cmp_eq_u32_e32 vcc_lo, 0, v2
	s_and_b32 vcc_lo, vcc_lo, exec_lo
	s_delay_alu instid0(SALU_CYCLE_1)
	s_or_b32 s38, s38, vcc_lo
	s_branch .LBB2_1197
.LBB2_1202:                             ;   in Loop: Header=BB2_1160 Depth=2
	s_or_b32 exec_lo, exec_lo, s34
	s_and_saveexec_b32 vcc_lo, s35
	s_delay_alu instid0(SALU_CYCLE_1)
	s_xor_b32 vcc_lo, exec_lo, vcc_lo
	s_cbranch_execz .LBB2_1204
; %bb.1203:                             ;   in Loop: Header=BB2_1160 Depth=2
	ds_store_b32 v0, v115
	s_cbranch_execnz .LBB2_1918
.LBB2_1204:                             ;   in Loop: Header=BB2_1160 Depth=2
	s_or_b32 exec_lo, exec_lo, s31
	;;#ASMSTART
	s_wakeup
	;;#ASMEND
.LBB2_1205:                             ;   in Loop: Header=BB2_1160 Depth=2
	s_or_b32 exec_lo, exec_lo, s30
.LBB2_1206:                             ;   in Loop: Header=BB2_1160 Depth=2
	s_and_not1_saveexec_b32 s14, s14
	s_cbranch_execz .LBB2_1208
; %bb.1207:                             ;   in Loop: Header=BB2_1160 Depth=2
	s_waitcnt lgkmcnt(0)
	s_waitcnt_vscnt null, 0x0
	buffer_gl1_inv
	buffer_gl0_inv
	s_barrier
.LBB2_1208:                             ;   in Loop: Header=BB2_1160 Depth=2
	s_or_b32 exec_lo, exec_lo, s14
.LBB2_1209:                             ;   in Loop: Header=BB2_1160 Depth=2
	s_delay_alu instid0(SALU_CYCLE_1)
	s_or_b32 exec_lo, exec_lo, s13
	s_cbranch_execnz .LBB2_1568
; %bb.1210:                             ;   in Loop: Header=BB2_1160 Depth=2
	ds_load_b32 v8, v0
	v_and_b32_e32 v2, 0x4000, v30
	s_xor_b32 s13, s2, -1
	s_delay_alu instid0(VALU_DEP_1) | instskip(SKIP_1) | instid1(SALU_CYCLE_1)
	v_cmp_ne_u32_e32 vcc_lo, 0, v2
	s_and_b32 s14, s13, vcc_lo
	s_and_saveexec_b32 s13, s14
	s_cbranch_execz .LBB2_1232
; %bb.1211:                             ;   in Loop: Header=BB2_1160 Depth=2
	s_and_saveexec_b32 s14, s4
	s_delay_alu instid0(SALU_CYCLE_1)
	s_xor_b32 s14, exec_lo, s14
	s_cbranch_execz .LBB2_1229
; %bb.1212:                             ;   in Loop: Header=BB2_1160 Depth=2
	s_and_saveexec_b32 s30, s1
	s_cbranch_execz .LBB2_1228
; %bb.1213:                             ;   in Loop: Header=BB2_1160 Depth=2
	s_mov_b32 s34, exec_lo
	s_mov_b32 s31, exec_lo
	v_mbcnt_lo_u32_b32 v2, s34, 0
	s_waitcnt lgkmcnt(0)
	s_waitcnt_vscnt null, 0x0
	buffer_gl1_inv
	buffer_gl0_inv
	v_cmpx_eq_u32_e32 0, v2
	s_cbranch_execz .LBB2_1215
; %bb.1214:                             ;   in Loop: Header=BB2_1160 Depth=2
	s_bcnt1_i32_b32 vcc_lo, s34
	s_delay_alu instid0(SALU_CYCLE_1)
	v_mov_b32_e32 v2, vcc_lo
	ds_add_u64 v0, v[2:3]
	s_cbranch_execnz .LBB2_1776
.LBB2_1215:                             ;   in Loop: Header=BB2_1160 Depth=2
	s_or_b32 exec_lo, exec_lo, s31
	s_cbranch_execnz .LBB2_1756
; %bb.1216:                             ;   in Loop: Header=BB2_1160 Depth=2
	ds_load_b64 v[9:10], v0
	v_add_co_u32 v12, vcc_lo, v12, v71
	v_add_co_ci_u32_e32 v13, vcc_lo, 0, v13, vcc_lo
	s_mov_b32 s31, exec_lo
	s_waitcnt lgkmcnt(0)
	s_delay_alu instid0(VALU_DEP_1)
	v_cmpx_lt_u64_e64 v[9:10], v[12:13]
	s_cbranch_execz .LBB2_1227
; %bb.1217:                             ;   in Loop: Header=BB2_1160 Depth=2
	s_mov_b32 s34, 0
	s_mov_b32 s37, 0
                                        ; implicit-def: $sgpr35
                                        ; implicit-def: $sgpr36
	s_branch .LBB2_1219
.LBB2_1218:                             ;   in Loop: Header=BB2_1219 Depth=3
	s_or_b32 exec_lo, exec_lo, s39
	s_delay_alu instid0(SALU_CYCLE_1) | instskip(NEXT) | instid1(SALU_CYCLE_1)
	s_and_b32 vcc_lo, exec_lo, vcc_lo
	s_or_b32 s34, vcc_lo, s34
	s_and_not1_b32 vcc_lo, s35, exec_lo
	s_and_b32 s35, s36, exec_lo
	s_delay_alu instid0(SALU_CYCLE_1)
	s_or_b32 s35, vcc_lo, s35
	s_and_not1_b32 exec_lo, exec_lo, s34
	s_cbranch_execz .LBB2_1225
.LBB2_1219:                             ;   Parent Loop BB2_51 Depth=1
                                        ;     Parent Loop BB2_1160 Depth=2
                                        ; =>    This Inner Loop Header: Depth=3
	s_add_i32 s37, s37, 1
                                        ; implicit-def: $sgpr39
	s_delay_alu instid0(SALU_CYCLE_1) | instskip(SKIP_1) | instid1(SALU_CYCLE_1)
	s_cmpk_lg_i32 s37, 0x2710
	s_cselect_b32 s38, -1, 0
	s_and_b32 vcc_lo, exec_lo, s38
	s_cbranch_vccz .LBB2_1223
.LBB2_1220:                             ;   in Loop: Header=BB2_1219 Depth=3
	s_and_not1_b32 s36, s36, exec_lo
	s_and_b32 s39, s39, exec_lo
	s_mov_b32 vcc_lo, -1
	s_or_b32 s36, s36, s39
	s_and_saveexec_b32 s39, s38
	s_cbranch_execz .LBB2_1218
; %bb.1221:                             ;   in Loop: Header=BB2_1219 Depth=3
	s_sleep 1
	s_cbranch_execnz .LBB2_1834
; %bb.1222:                             ;   in Loop: Header=BB2_1219 Depth=3
	ds_load_b64 v[9:10], v0
	s_and_not1_b32 s36, s36, exec_lo
	s_waitcnt lgkmcnt(0)
	v_cmp_ge_u64_e32 vcc_lo, v[9:10], v[12:13]
	s_or_not1_b32 vcc_lo, vcc_lo, exec_lo
	s_branch .LBB2_1218
.LBB2_1223:                             ;   in Loop: Header=BB2_1219 Depth=3
	s_cbranch_execnz .LBB2_1846
; %bb.1224:                             ;   in Loop: Header=BB2_1219 Depth=3
	ds_load_b64 v[9:10], v0
	s_and_not1_b32 s38, s38, exec_lo
	s_mov_b32 s37, 0
	s_mov_b32 s39, -1
	s_waitcnt lgkmcnt(0)
	flat_load_b32 v2, v[9:10] glc
	s_waitcnt vmcnt(0) lgkmcnt(0)
	buffer_gl1_inv
	buffer_gl0_inv
	v_cmp_eq_u32_e32 vcc_lo, 0, v2
	s_and_b32 vcc_lo, vcc_lo, exec_lo
	s_delay_alu instid0(SALU_CYCLE_1)
	s_or_b32 s38, s38, vcc_lo
	s_branch .LBB2_1220
.LBB2_1225:                             ;   in Loop: Header=BB2_1160 Depth=2
	s_or_b32 exec_lo, exec_lo, s34
	s_and_saveexec_b32 vcc_lo, s35
	s_delay_alu instid0(SALU_CYCLE_1)
	s_xor_b32 vcc_lo, exec_lo, vcc_lo
	s_cbranch_execz .LBB2_1227
; %bb.1226:                             ;   in Loop: Header=BB2_1160 Depth=2
	ds_store_b32 v0, v115
	s_cbranch_execnz .LBB2_1932
.LBB2_1227:                             ;   in Loop: Header=BB2_1160 Depth=2
	s_or_b32 exec_lo, exec_lo, s31
	;;#ASMSTART
	s_wakeup
	;;#ASMEND
.LBB2_1228:                             ;   in Loop: Header=BB2_1160 Depth=2
	s_or_b32 exec_lo, exec_lo, s30
.LBB2_1229:                             ;   in Loop: Header=BB2_1160 Depth=2
	s_and_not1_saveexec_b32 s14, s14
	s_cbranch_execz .LBB2_1231
; %bb.1230:                             ;   in Loop: Header=BB2_1160 Depth=2
	s_waitcnt lgkmcnt(0)
	s_waitcnt_vscnt null, 0x0
	buffer_gl1_inv
	buffer_gl0_inv
	s_barrier
.LBB2_1231:                             ;   in Loop: Header=BB2_1160 Depth=2
	s_or_b32 exec_lo, exec_lo, s14
.LBB2_1232:                             ;   in Loop: Header=BB2_1160 Depth=2
	s_delay_alu instid0(SALU_CYCLE_1)
	s_or_b32 exec_lo, exec_lo, s13
	s_cbranch_execnz .LBB2_1626
; %bb.1233:                             ;   in Loop: Header=BB2_1160 Depth=2
	ds_load_b64 v[9:10], v0
	v_sub_nc_u32_e32 v2, v48, v50
	v_mov_b32_e32 v53, 0
	s_delay_alu instid0(VALU_DEP_2) | instskip(SKIP_3) | instid1(SALU_CYCLE_1)
	v_min_i32_e32 v49, v49, v2
	s_waitcnt lgkmcnt(0)
	v_cmp_eq_u64_e32 vcc_lo, 0, v[9:10]
	s_or_b32 s13, vcc_lo, vcc_lo
	s_and_b32 vcc_lo, exec_lo, s13
	s_cbranch_vccnz .LBB2_1267
; %bb.1234:                             ;   in Loop: Header=BB2_1160 Depth=2
	s_mov_b32 s13, -1
	s_and_saveexec_b32 s14, s6
	s_cbranch_execz .LBB2_1236
; %bb.1235:                             ;   in Loop: Header=BB2_1160 Depth=2
	ds_load_b32 v2, v0 offset:720
	s_waitcnt lgkmcnt(0)
	v_and_b32_e32 v2, 15, v2
	s_delay_alu instid0(VALU_DEP_1)
	v_cmp_eq_u32_e32 vcc_lo, 0, v2
	s_or_not1_b32 s13, vcc_lo, exec_lo
.LBB2_1236:                             ;   in Loop: Header=BB2_1160 Depth=2
	s_or_b32 exec_lo, exec_lo, s14
	s_and_saveexec_b32 s14, s5
	s_cbranch_execz .LBB2_1238
; %bb.1237:                             ;   in Loop: Header=BB2_1160 Depth=2
	ds_load_b32 v2, v0 offset:784
	s_waitcnt lgkmcnt(0)
	v_and_b32_e32 v2, 15, v2
	s_delay_alu instid0(VALU_DEP_1) | instskip(SKIP_3) | instid1(SALU_CYCLE_1)
	v_cmp_eq_u32_e32 vcc_lo, 0, v2
	s_and_b32 vcc_lo, s13, vcc_lo
	s_and_not1_b32 s13, s13, exec_lo
	s_and_b32 vcc_lo, vcc_lo, exec_lo
	s_or_b32 s13, s13, vcc_lo
.LBB2_1238:                             ;   in Loop: Header=BB2_1160 Depth=2
	s_or_b32 exec_lo, exec_lo, s14
	v_cmp_eq_u32_e32 vcc_lo, 0, v8
	s_xor_b32 s13, s13, -1
	v_mov_b32_e32 v66, v80
	v_cndmask_b32_e64 v2, 0, 1, s13
	;;#ASMSTART
	;;#ASMEND
	v_cndmask_b32_e32 v53, 0, v49, vcc_lo
	s_delay_alu instid0(VALU_DEP_2) | instskip(SKIP_2) | instid1(VALU_DEP_3)
	v_cmp_ne_u32_e32 vcc_lo, 0, v2
	v_mov_b32_e32 v2, 0
	s_mov_b32 s13, -1
	v_dual_mov_b32 v55, v0 :: v_dual_mov_b32 v54, v53
	s_cbranch_vccnz .LBB2_1254
; %bb.1239:                             ;   in Loop: Header=BB2_1160 Depth=2
	v_ashrrev_i32_e32 v2, 31, v53
	s_mov_b32 s14, exec_lo
	s_delay_alu instid0(VALU_DEP_1) | instskip(NEXT) | instid1(VALU_DEP_1)
	v_lshrrev_b32_e32 v2, 22, v2
	v_add_nc_u32_e32 v2, v53, v2
	s_delay_alu instid0(VALU_DEP_1) | instskip(NEXT) | instid1(VALU_DEP_1)
	v_ashrrev_i32_e32 v2, 10, v2
	v_sub_nc_u32_e32 v64, v2, v80
	s_delay_alu instid0(VALU_DEP_1)
	v_cmpx_lt_i32_e32 0, v64
	s_cbranch_execz .LBB2_1244
; %bb.1240:                             ;   in Loop: Header=BB2_1160 Depth=2
	s_cbranch_execnz .LBB2_1802
; %bb.1241:                             ;   in Loop: Header=BB2_1160 Depth=2
	ds_load_b64 v[8:9], v0
	v_dual_mov_b32 v10, v34 :: v_dual_mov_b32 v11, v35
	s_mov_b32 s30, 0
.LBB2_1242:                             ;   Parent Loop BB2_51 Depth=1
                                        ;     Parent Loop BB2_1160 Depth=2
                                        ; =>    This Inner Loop Header: Depth=3
	s_waitcnt lgkmcnt(0)
	s_delay_alu instid0(VALU_DEP_1) | instskip(NEXT) | instid1(VALU_DEP_2)
	v_add_co_u32 v54, vcc_lo, v8, v10
	v_add_co_ci_u32_e32 v55, vcc_lo, v9, v11, vcc_lo
	v_sub_nc_u32_e32 v64, v64, v71
	v_add_co_u32 v10, s13, v10, v84
	s_clause 0x1
	global_load_b128 v[116:119], v[54:55], off slc dlc
	global_load_b128 v[128:131], v[54:55], off offset:512 slc dlc
	v_add_co_ci_u32_e64 v11, s13, v11, v85, s13
	v_cmp_gt_i32_e32 vcc_lo, 1, v64
	s_waitcnt vmcnt(1)
	global_store_b128 v[54:55], v[116:119], off glc slc dlc
	s_waitcnt vmcnt(0)
	global_store_b128 v[54:55], v[128:131], off offset:512 glc slc dlc
	s_or_b32 s30, vcc_lo, s30
	s_delay_alu instid0(SALU_CYCLE_1)
	s_and_not1_b32 exec_lo, exec_lo, s30
	s_cbranch_execnz .LBB2_1242
; %bb.1243:                             ;   in Loop: Header=BB2_1160 Depth=2
	s_or_b32 exec_lo, exec_lo, s30
.LBB2_1244:                             ;   in Loop: Header=BB2_1160 Depth=2
	s_delay_alu instid0(SALU_CYCLE_1) | instskip(SKIP_4) | instid1(VALU_DEP_2)
	s_or_b32 exec_lo, exec_lo, s14
	v_lshlrev_b32_e32 v10, 10, v2
	v_mov_b32_e32 v2, 0
	s_mov_b32 s13, 0
	s_mov_b32 s30, exec_lo
                                        ; implicit-def: $vgpr54
                                        ; implicit-def: $vgpr55
                                        ; implicit-def: $vgpr66
	v_cmpx_ne_u32_e64 v53, v10
	s_cbranch_execz .LBB2_1253
; %bb.1245:                             ;   in Loop: Header=BB2_1160 Depth=2
	v_lshlrev_b32_e32 v2, 5, v64
	v_sub_nc_u32_e32 v9, v53, v10
	s_mov_b32 s31, exec_lo
	s_delay_alu instid0(VALU_DEP_2) | instskip(NEXT) | instid1(VALU_DEP_2)
	v_sub_nc_u32_e32 v2, v81, v2
	v_ashrrev_i32_e32 v11, 31, v9
	s_delay_alu instid0(VALU_DEP_2) | instskip(NEXT) | instid1(VALU_DEP_2)
	v_ashrrev_i32_e32 v8, 31, v2
	v_lshrrev_b32_e32 v11, 23, v11
	s_delay_alu instid0(VALU_DEP_2) | instskip(NEXT) | instid1(VALU_DEP_2)
	v_lshrrev_b32_e32 v8, 27, v8
	v_add_nc_u32_e32 v55, v9, v11
	s_delay_alu instid0(VALU_DEP_2) | instskip(NEXT) | instid1(VALU_DEP_2)
	v_add_nc_u32_e32 v8, v2, v8
	v_and_b32_e32 v11, 0xfffffe00, v55
	v_ashrrev_i32_e32 v55, 9, v55
	s_delay_alu instid0(VALU_DEP_3) | instskip(NEXT) | instid1(VALU_DEP_3)
	v_and_b32_e32 v54, 0xffffffe0, v8
	v_sub_nc_u32_e32 v65, v9, v11
	v_ashrrev_i32_e32 v8, 5, v8
	s_delay_alu instid0(VALU_DEP_3) | instskip(NEXT) | instid1(VALU_DEP_3)
	v_sub_nc_u32_e32 v64, v2, v54
	v_cmp_lt_i32_e32 vcc_lo, 15, v65
	s_delay_alu instid0(VALU_DEP_2) | instskip(SKIP_1) | instid1(VALU_DEP_2)
	v_lshlrev_b32_e32 v2, 4, v64
	v_add_co_ci_u32_e64 v55, s13, 0, v55, vcc_lo
	v_lshl_add_u32 v54, v8, 9, v2
	s_delay_alu instid0(VALU_DEP_2) | instskip(NEXT) | instid1(VALU_DEP_2)
	v_sub_nc_u32_e32 v67, v55, v8
	v_sub_nc_u32_e32 v2, v9, v54
	s_delay_alu instid0(VALU_DEP_1)
	v_cmpx_lt_i32_e32 15, v2
	s_cbranch_execz .LBB2_1250
; %bb.1246:                             ;   in Loop: Header=BB2_1160 Depth=2
	s_cbranch_execnz .LBB2_1858
; %bb.1247:                             ;   in Loop: Header=BB2_1160 Depth=2
	ds_load_b64 v[8:9], v0
	v_add_nc_u32_e32 v54, v54, v10
	s_mov_b32 s34, 0
	s_delay_alu instid0(VALU_DEP_1)
	v_ashrrev_i32_e32 v55, 31, v54
.LBB2_1248:                             ;   Parent Loop BB2_51 Depth=1
                                        ;     Parent Loop BB2_1160 Depth=2
                                        ; =>    This Inner Loop Header: Depth=3
	s_waitcnt lgkmcnt(0)
	v_add_co_u32 v128, s13, v8, v54
	s_delay_alu instid0(VALU_DEP_1)
	v_add_co_ci_u32_e64 v129, s13, v9, v55, s13
	v_sub_nc_u32_e32 v2, v2, v82
	v_add_co_u32 v54, s14, v54, v96
	global_load_b128 v[116:119], v[128:129], off slc dlc
	v_sub_nc_u32_e32 v67, v67, v71
	v_cmp_gt_i32_e64 s13, 16, v2
	v_add_co_ci_u32_e64 v55, s14, v55, v97, s14
	s_delay_alu instid0(VALU_DEP_2)
	s_or_b32 s34, s13, s34
	s_waitcnt vmcnt(0)
	global_store_b128 v[128:129], v[116:119], off glc slc dlc
	s_and_not1_b32 exec_lo, exec_lo, s34
	s_cbranch_execnz .LBB2_1248
; %bb.1249:                             ;   in Loop: Header=BB2_1160 Depth=2
	s_or_b32 exec_lo, exec_lo, s34
.LBB2_1250:                             ;   in Loop: Header=BB2_1160 Depth=2
	s_delay_alu instid0(SALU_CYCLE_1) | instskip(SKIP_4) | instid1(VALU_DEP_2)
	s_or_b32 exec_lo, exec_lo, s31
	v_and_b32_e32 v8, 15, v53
	v_mov_b32_e32 v2, 0
	s_mov_b32 s14, 0
	s_mov_b32 s31, exec_lo
                                        ; implicit-def: $vgpr55
                                        ; implicit-def: $vgpr66
	v_cndmask_b32_e32 v54, v65, v8, vcc_lo
	s_delay_alu instid0(VALU_DEP_1)
	v_cmpx_ne_u32_e32 0, v54
; %bb.1251:                             ;   in Loop: Header=BB2_1160 Depth=2
	v_cmp_lt_i32_e64 s13, 0, v67
	v_sub_nc_u32_e32 v8, v65, v8
	s_mov_b32 s14, exec_lo
	s_delay_alu instid0(VALU_DEP_2) | instskip(NEXT) | instid1(VALU_DEP_1)
	v_cndmask_b32_e64 v2, 0, v71, s13
	v_sub_nc_u32_e32 v2, v2, v67
	s_delay_alu instid0(VALU_DEP_1) | instskip(NEXT) | instid1(VALU_DEP_1)
	v_lshl_add_u32 v55, v2, 5, v64
	v_ashrrev_i32_e32 v2, 31, v55
	s_delay_alu instid0(VALU_DEP_1) | instskip(NEXT) | instid1(VALU_DEP_1)
	v_lshrrev_b32_e32 v2, 27, v2
	v_dual_cndmask_b32 v8, 0, v8 :: v_dual_add_nc_u32 v9, v55, v2
	s_delay_alu instid0(VALU_DEP_1) | instskip(NEXT) | instid1(VALU_DEP_2)
	v_add3_u32 v2, v11, v10, v8
	v_ashrrev_i32_e32 v66, 5, v9
; %bb.1252:                             ;   in Loop: Header=BB2_1160 Depth=2
	s_or_b32 exec_lo, exec_lo, s31
	s_delay_alu instid0(SALU_CYCLE_1)
	s_and_b32 s13, s14, exec_lo
.LBB2_1253:                             ;   in Loop: Header=BB2_1160 Depth=2
	s_or_b32 exec_lo, exec_lo, s30
.LBB2_1254:                             ;   in Loop: Header=BB2_1160 Depth=2
	s_and_saveexec_b32 s14, s13
	s_cbranch_execz .LBB2_1266
; %bb.1255:                             ;   in Loop: Header=BB2_1160 Depth=2
	s_delay_alu instid0(VALU_DEP_1) | instskip(SKIP_1) | instid1(VALU_DEP_1)
	v_ashrrev_i32_e32 v8, 31, v54
	s_mov_b32 s13, exec_lo
	v_lshrrev_b32_e32 v8, 24, v8
	s_delay_alu instid0(VALU_DEP_1) | instskip(NEXT) | instid1(VALU_DEP_1)
	v_add_nc_u32_e32 v8, v54, v8
	v_ashrrev_i32_e32 v65, 8, v8
	s_delay_alu instid0(VALU_DEP_1) | instskip(NEXT) | instid1(VALU_DEP_1)
	v_sub_nc_u32_e32 v64, v65, v66
	v_cmpx_lt_i32_e32 0, v64
	s_cbranch_execz .LBB2_1260
; %bb.1256:                             ;   in Loop: Header=BB2_1160 Depth=2
	s_cbranch_execnz .LBB2_1796
; %bb.1257:                             ;   in Loop: Header=BB2_1160 Depth=2
	v_ashrrev_i32_e32 v8, 31, v55
	s_mov_b32 s30, 0
	s_delay_alu instid0(VALU_DEP_1) | instskip(NEXT) | instid1(VALU_DEP_1)
	v_lshrrev_b32_e32 v8, 27, v8
	v_add_nc_u32_e32 v10, v55, v8
	ds_load_b64 v[8:9], v0
	v_lshlrev_b32_e32 v11, 8, v66
	v_and_b32_e32 v10, 0xffffffe0, v10
	s_delay_alu instid0(VALU_DEP_1) | instskip(NEXT) | instid1(VALU_DEP_1)
	v_sub_nc_u32_e32 v10, v55, v10
	v_add3_u32 v66, v2, v10, v11
	s_delay_alu instid0(VALU_DEP_1)
	v_ashrrev_i32_e32 v67, 31, v66
	s_waitcnt lgkmcnt(0)
	v_dual_mov_b32 v11, v9 :: v_dual_mov_b32 v10, v8
.LBB2_1258:                             ;   Parent Loop BB2_51 Depth=1
                                        ;     Parent Loop BB2_1160 Depth=2
                                        ; =>    This Inner Loop Header: Depth=3
	s_delay_alu instid0(VALU_DEP_1) | instskip(NEXT) | instid1(VALU_DEP_2)
	v_add_co_u32 v116, vcc_lo, v66, v10
	v_add_co_ci_u32_e32 v117, vcc_lo, v67, v11, vcc_lo
	v_sub_nc_u32_e32 v64, v64, v71
	s_clause 0x7
	flat_load_u8 v118, v[116:117] slc dlc
	flat_load_u8 v119, v[116:117] offset:32 slc dlc
	flat_load_u8 v128, v[116:117] offset:64 slc dlc
	;; [unrolled: 1-line block ×7, first 2 shown]
	v_add_co_u32 v116, vcc_lo, v66, v8
	v_add_co_ci_u32_e32 v117, vcc_lo, v67, v9, vcc_lo
	v_add_co_u32 v10, vcc_lo, v10, v99
	v_add_co_ci_u32_e32 v11, vcc_lo, v11, v100, vcc_lo
	;; [unrolled: 2-line block ×3, first 2 shown]
	v_cmp_gt_i32_e32 vcc_lo, 1, v64
	s_waitcnt vmcnt(7) lgkmcnt(7)
	flat_store_b8 v[116:117], v118 glc slc dlc
	s_waitcnt vmcnt(6) lgkmcnt(7)
	flat_store_b8 v[116:117], v119 offset:32 glc slc dlc
	s_waitcnt vmcnt(5) lgkmcnt(7)
	flat_store_b8 v[116:117], v128 offset:64 glc slc dlc
	;; [unrolled: 2-line block ×7, first 2 shown]
	s_or_b32 s30, vcc_lo, s30
	s_delay_alu instid0(SALU_CYCLE_1)
	s_and_not1_b32 exec_lo, exec_lo, s30
	s_cbranch_execnz .LBB2_1258
; %bb.1259:                             ;   in Loop: Header=BB2_1160 Depth=2
	s_or_b32 exec_lo, exec_lo, s30
.LBB2_1260:                             ;   in Loop: Header=BB2_1160 Depth=2
	s_delay_alu instid0(SALU_CYCLE_1) | instskip(SKIP_2) | instid1(VALU_DEP_1)
	s_or_b32 exec_lo, exec_lo, s13
	v_lshlrev_b32_e32 v8, 8, v65
	s_mov_b32 s30, exec_lo
	v_cmpx_ne_u32_e64 v54, v8
	s_cbranch_execz .LBB2_1265
; %bb.1261:                             ;   in Loop: Header=BB2_1160 Depth=2
	v_ashrrev_i32_e32 v9, 31, v55
	v_lshlrev_b32_e32 v10, 5, v64
	s_delay_alu instid0(VALU_DEP_2) | instskip(NEXT) | instid1(VALU_DEP_1)
	v_lshrrev_b32_e32 v9, 27, v9
	v_add_nc_u32_e32 v9, v55, v9
	s_delay_alu instid0(VALU_DEP_1) | instskip(NEXT) | instid1(VALU_DEP_1)
	v_and_b32_e32 v9, 0xffffffe0, v9
	v_sub_nc_u32_e32 v9, v55, v9
	s_delay_alu instid0(VALU_DEP_1) | instskip(NEXT) | instid1(VALU_DEP_1)
	v_sub_nc_u32_e32 v9, v9, v10
	v_add_nc_u32_e32 v11, v8, v9
	s_delay_alu instid0(VALU_DEP_1) | instskip(NEXT) | instid1(VALU_DEP_1)
	v_sub_nc_u32_e32 v10, v54, v11
	v_cmp_lt_i32_e32 vcc_lo, 0, v10
	s_and_b32 exec_lo, exec_lo, vcc_lo
	s_cbranch_execz .LBB2_1265
; %bb.1262:                             ;   in Loop: Header=BB2_1160 Depth=2
	s_cbranch_execnz .LBB2_1852
; %bb.1263:                             ;   in Loop: Header=BB2_1160 Depth=2
	ds_load_b64 v[8:9], v0
	v_add_nc_u32_e32 v2, v11, v2
	s_mov_b32 s31, 0
	s_delay_alu instid0(VALU_DEP_1)
	v_ashrrev_i32_e32 v11, 31, v2
.LBB2_1264:                             ;   Parent Loop BB2_51 Depth=1
                                        ;     Parent Loop BB2_1160 Depth=2
                                        ; =>    This Inner Loop Header: Depth=3
	s_waitcnt lgkmcnt(0)
	v_add_co_u32 v54, vcc_lo, v8, v2
	s_delay_alu instid0(VALU_DEP_2)
	v_add_co_ci_u32_e32 v55, vcc_lo, v9, v11, vcc_lo
	v_sub_nc_u32_e32 v10, v10, v87
	v_add_co_u32 v2, s13, v2, v102
	flat_load_u8 v64, v[54:55] slc dlc
	v_add_co_ci_u32_e64 v11, s13, v11, v103, s13
	v_cmp_gt_i32_e32 vcc_lo, 1, v10
	s_or_b32 s31, vcc_lo, s31
	s_waitcnt vmcnt(0) lgkmcnt(0)
	flat_store_b8 v[54:55], v64 glc slc dlc
	s_and_not1_b32 exec_lo, exec_lo, s31
	s_cbranch_execnz .LBB2_1264
.LBB2_1265:                             ;   in Loop: Header=BB2_1160 Depth=2
	s_or_b32 exec_lo, exec_lo, s30
.LBB2_1266:                             ;   in Loop: Header=BB2_1160 Depth=2
	s_delay_alu instid0(SALU_CYCLE_1)
	s_or_b32 exec_lo, exec_lo, s14
.LBB2_1267:                             ;   in Loop: Header=BB2_1160 Depth=2
	s_and_saveexec_b32 s13, s3
	s_cbranch_execz .LBB2_1289
; %bb.1268:                             ;   in Loop: Header=BB2_1160 Depth=2
	s_and_saveexec_b32 s14, s4
	s_delay_alu instid0(SALU_CYCLE_1)
	s_xor_b32 s14, exec_lo, s14
	s_cbranch_execz .LBB2_1286
; %bb.1269:                             ;   in Loop: Header=BB2_1160 Depth=2
	s_and_saveexec_b32 s30, s1
	s_cbranch_execz .LBB2_1285
; %bb.1270:                             ;   in Loop: Header=BB2_1160 Depth=2
	s_mov_b32 s34, exec_lo
	s_mov_b32 s31, exec_lo
	v_mbcnt_lo_u32_b32 v2, s34, 0
	s_waitcnt lgkmcnt(0)
	s_waitcnt_vscnt null, 0x0
	buffer_gl1_inv
	buffer_gl0_inv
	v_cmpx_eq_u32_e32 0, v2
	s_cbranch_execz .LBB2_1272
; %bb.1271:                             ;   in Loop: Header=BB2_1160 Depth=2
	s_bcnt1_i32_b32 vcc_lo, s34
	s_delay_alu instid0(SALU_CYCLE_1)
	v_mov_b32_e32 v2, vcc_lo
	ds_add_u64 v0, v[2:3]
	s_cbranch_execnz .LBB2_1838
.LBB2_1272:                             ;   in Loop: Header=BB2_1160 Depth=2
	s_or_b32 exec_lo, exec_lo, s31
	s_cbranch_execnz .LBB2_1814
; %bb.1273:                             ;   in Loop: Header=BB2_1160 Depth=2
	ds_load_b64 v[8:9], v0
	v_add_co_u32 v12, vcc_lo, v12, v71
	v_add_co_ci_u32_e32 v13, vcc_lo, 0, v13, vcc_lo
	s_mov_b32 s31, exec_lo
	s_waitcnt lgkmcnt(0)
	s_delay_alu instid0(VALU_DEP_1)
	v_cmpx_lt_u64_e64 v[8:9], v[12:13]
	s_cbranch_execz .LBB2_1284
; %bb.1274:                             ;   in Loop: Header=BB2_1160 Depth=2
	s_mov_b32 s34, 0
	s_mov_b32 s37, 0
                                        ; implicit-def: $sgpr35
                                        ; implicit-def: $sgpr36
	s_branch .LBB2_1276
.LBB2_1275:                             ;   in Loop: Header=BB2_1276 Depth=3
	s_or_b32 exec_lo, exec_lo, s39
	s_delay_alu instid0(SALU_CYCLE_1) | instskip(NEXT) | instid1(SALU_CYCLE_1)
	s_and_b32 vcc_lo, exec_lo, vcc_lo
	s_or_b32 s34, vcc_lo, s34
	s_and_not1_b32 vcc_lo, s35, exec_lo
	s_and_b32 s35, s36, exec_lo
	s_delay_alu instid0(SALU_CYCLE_1)
	s_or_b32 s35, vcc_lo, s35
	s_and_not1_b32 exec_lo, exec_lo, s34
	s_cbranch_execz .LBB2_1282
.LBB2_1276:                             ;   Parent Loop BB2_51 Depth=1
                                        ;     Parent Loop BB2_1160 Depth=2
                                        ; =>    This Inner Loop Header: Depth=3
	s_add_i32 s37, s37, 1
                                        ; implicit-def: $sgpr39
	s_delay_alu instid0(SALU_CYCLE_1) | instskip(SKIP_1) | instid1(SALU_CYCLE_1)
	s_cmpk_lg_i32 s37, 0x2710
	s_cselect_b32 s38, -1, 0
	s_and_b32 vcc_lo, exec_lo, s38
	s_cbranch_vccz .LBB2_1280
.LBB2_1277:                             ;   in Loop: Header=BB2_1276 Depth=3
	s_and_not1_b32 s36, s36, exec_lo
	s_and_b32 s39, s39, exec_lo
	s_mov_b32 vcc_lo, -1
	s_or_b32 s36, s36, s39
	s_and_saveexec_b32 s39, s38
	s_cbranch_execz .LBB2_1275
; %bb.1278:                             ;   in Loop: Header=BB2_1276 Depth=3
	s_sleep 1
	s_cbranch_execnz .LBB2_1872
; %bb.1279:                             ;   in Loop: Header=BB2_1276 Depth=3
	ds_load_b64 v[8:9], v0
	s_and_not1_b32 s36, s36, exec_lo
	s_waitcnt lgkmcnt(0)
	v_cmp_ge_u64_e32 vcc_lo, v[8:9], v[12:13]
	s_or_not1_b32 vcc_lo, vcc_lo, exec_lo
	s_branch .LBB2_1275
.LBB2_1280:                             ;   in Loop: Header=BB2_1276 Depth=3
	s_cbranch_execnz .LBB2_1882
; %bb.1281:                             ;   in Loop: Header=BB2_1276 Depth=3
	ds_load_b64 v[8:9], v0
	s_and_not1_b32 s38, s38, exec_lo
	s_mov_b32 s37, 0
	s_mov_b32 s39, -1
	s_waitcnt lgkmcnt(0)
	flat_load_b32 v2, v[8:9] glc
	s_waitcnt vmcnt(0) lgkmcnt(0)
	buffer_gl1_inv
	buffer_gl0_inv
	v_cmp_eq_u32_e32 vcc_lo, 0, v2
	s_and_b32 vcc_lo, vcc_lo, exec_lo
	s_delay_alu instid0(SALU_CYCLE_1)
	s_or_b32 s38, s38, vcc_lo
	s_branch .LBB2_1277
.LBB2_1282:                             ;   in Loop: Header=BB2_1160 Depth=2
	s_or_b32 exec_lo, exec_lo, s34
	s_and_saveexec_b32 vcc_lo, s35
	s_delay_alu instid0(SALU_CYCLE_1)
	s_xor_b32 vcc_lo, exec_lo, vcc_lo
	s_cbranch_execz .LBB2_1284
; %bb.1283:                             ;   in Loop: Header=BB2_1160 Depth=2
	ds_store_b32 v0, v115
	s_cbranch_execnz .LBB2_1936
.LBB2_1284:                             ;   in Loop: Header=BB2_1160 Depth=2
	s_or_b32 exec_lo, exec_lo, s31
	;;#ASMSTART
	s_wakeup
	;;#ASMEND
.LBB2_1285:                             ;   in Loop: Header=BB2_1160 Depth=2
	s_or_b32 exec_lo, exec_lo, s30
.LBB2_1286:                             ;   in Loop: Header=BB2_1160 Depth=2
	s_and_not1_saveexec_b32 s14, s14
	s_cbranch_execz .LBB2_1288
; %bb.1287:                             ;   in Loop: Header=BB2_1160 Depth=2
	s_waitcnt lgkmcnt(0)
	s_waitcnt_vscnt null, 0x0
	buffer_gl1_inv
	buffer_gl0_inv
	s_barrier
.LBB2_1288:                             ;   in Loop: Header=BB2_1160 Depth=2
	s_or_b32 exec_lo, exec_lo, s14
.LBB2_1289:                             ;   in Loop: Header=BB2_1160 Depth=2
	s_delay_alu instid0(SALU_CYCLE_1) | instskip(SKIP_1) | instid1(SALU_CYCLE_1)
	s_or_b32 exec_lo, exec_lo, s13
	s_and_saveexec_b32 s13, s7
	s_xor_b32 s14, exec_lo, s13
	s_cbranch_execz .LBB2_1293
; %bb.1290:                             ;   in Loop: Header=BB2_1160 Depth=2
	v_and_b32_e32 v2, 16, v30
	v_cmp_lt_i32_e32 vcc_lo, 0, v53
	s_delay_alu instid0(VALU_DEP_2) | instskip(NEXT) | instid1(VALU_DEP_1)
	v_cmp_ne_u32_e64 s13, 0, v2
	s_and_b32 vcc_lo, s13, vcc_lo
	s_delay_alu instid0(SALU_CYCLE_1)
	s_and_saveexec_b32 s13, vcc_lo
	s_cbranch_execz .LBB2_1292
; %bb.1291:                             ;   in Loop: Header=BB2_1160 Depth=2
	s_waitcnt lgkmcnt(0)
	s_waitcnt_vscnt null, 0x0
	buffer_gl1_inv
	buffer_gl0_inv
.LBB2_1292:                             ;   in Loop: Header=BB2_1160 Depth=2
	s_or_b32 exec_lo, exec_lo, s13
.LBB2_1293:                             ;   in Loop: Header=BB2_1160 Depth=2
	s_and_not1_saveexec_b32 s13, s14
	s_cbranch_execz .LBB2_1315
; %bb.1294:                             ;   in Loop: Header=BB2_1160 Depth=2
	s_and_saveexec_b32 s14, s4
	s_delay_alu instid0(SALU_CYCLE_1)
	s_xor_b32 s14, exec_lo, s14
	s_cbranch_execz .LBB2_1312
; %bb.1295:                             ;   in Loop: Header=BB2_1160 Depth=2
	s_and_saveexec_b32 s30, s1
	s_cbranch_execz .LBB2_1311
; %bb.1296:                             ;   in Loop: Header=BB2_1160 Depth=2
	s_mov_b32 s34, exec_lo
	s_mov_b32 s31, exec_lo
	v_mbcnt_lo_u32_b32 v2, s34, 0
	;;#ASMSTART
	s_waitcnt lgkmcnt(0) vmcnt(0)
	;;#ASMEND
	s_delay_alu instid0(VALU_DEP_1)
	v_cmpx_eq_u32_e32 0, v2
	s_cbranch_execz .LBB2_1298
; %bb.1297:                             ;   in Loop: Header=BB2_1160 Depth=2
	s_bcnt1_i32_b32 vcc_lo, s34
	s_delay_alu instid0(SALU_CYCLE_1)
	v_mov_b32_e32 v2, vcc_lo
	ds_add_u64 v0, v[2:3]
	s_cbranch_execnz .LBB2_1844
.LBB2_1298:                             ;   in Loop: Header=BB2_1160 Depth=2
	s_or_b32 exec_lo, exec_lo, s31
	s_cbranch_execnz .LBB2_1824
; %bb.1299:                             ;   in Loop: Header=BB2_1160 Depth=2
	ds_load_b64 v[8:9], v0
	v_add_co_u32 v12, vcc_lo, v12, v71
	v_add_co_ci_u32_e32 v13, vcc_lo, 0, v13, vcc_lo
	s_mov_b32 s31, exec_lo
	s_waitcnt lgkmcnt(0)
	s_delay_alu instid0(VALU_DEP_1)
	v_cmpx_lt_u64_e64 v[8:9], v[12:13]
	s_cbranch_execz .LBB2_1310
; %bb.1300:                             ;   in Loop: Header=BB2_1160 Depth=2
	s_mov_b32 s34, 0
	s_mov_b32 s37, 0
                                        ; implicit-def: $sgpr35
                                        ; implicit-def: $sgpr36
	s_branch .LBB2_1302
.LBB2_1301:                             ;   in Loop: Header=BB2_1302 Depth=3
	s_or_b32 exec_lo, exec_lo, s39
	s_delay_alu instid0(SALU_CYCLE_1) | instskip(NEXT) | instid1(SALU_CYCLE_1)
	s_and_b32 vcc_lo, exec_lo, vcc_lo
	s_or_b32 s34, vcc_lo, s34
	s_and_not1_b32 vcc_lo, s35, exec_lo
	s_and_b32 s35, s36, exec_lo
	s_delay_alu instid0(SALU_CYCLE_1)
	s_or_b32 s35, vcc_lo, s35
	s_and_not1_b32 exec_lo, exec_lo, s34
	s_cbranch_execz .LBB2_1308
.LBB2_1302:                             ;   Parent Loop BB2_51 Depth=1
                                        ;     Parent Loop BB2_1160 Depth=2
                                        ; =>    This Inner Loop Header: Depth=3
	s_add_i32 s37, s37, 1
                                        ; implicit-def: $sgpr39
	s_delay_alu instid0(SALU_CYCLE_1) | instskip(SKIP_1) | instid1(SALU_CYCLE_1)
	s_cmpk_lg_i32 s37, 0x2710
	s_cselect_b32 s38, -1, 0
	s_and_b32 vcc_lo, exec_lo, s38
	s_cbranch_vccnz .LBB2_1305
; %bb.1303:                             ;   in Loop: Header=BB2_1302 Depth=3
	s_cbranch_execnz .LBB2_1890
; %bb.1304:                             ;   in Loop: Header=BB2_1302 Depth=3
	ds_load_b64 v[8:9], v0
	s_and_not1_b32 s38, s38, exec_lo
	s_mov_b32 s37, 0
	s_mov_b32 s39, -1
	s_waitcnt lgkmcnt(0)
	s_waitcnt_vscnt null, 0x0
	flat_load_b32 v2, v[8:9] glc
	s_waitcnt vmcnt(0) lgkmcnt(0)
	buffer_gl1_inv
	buffer_gl0_inv
	v_cmp_eq_u32_e32 vcc_lo, 0, v2
	s_and_b32 vcc_lo, vcc_lo, exec_lo
	s_delay_alu instid0(SALU_CYCLE_1)
	s_or_b32 s38, s38, vcc_lo
.LBB2_1305:                             ;   in Loop: Header=BB2_1302 Depth=3
	s_and_not1_b32 s36, s36, exec_lo
	s_and_b32 s39, s39, exec_lo
	s_mov_b32 vcc_lo, -1
	s_or_b32 s36, s36, s39
	s_and_saveexec_b32 s39, s38
	s_cbranch_execz .LBB2_1301
; %bb.1306:                             ;   in Loop: Header=BB2_1302 Depth=3
	s_sleep 1
	s_cbranch_execnz .LBB2_1876
; %bb.1307:                             ;   in Loop: Header=BB2_1302 Depth=3
	ds_load_b64 v[8:9], v0
	s_and_not1_b32 s36, s36, exec_lo
	s_waitcnt lgkmcnt(0)
	v_cmp_ge_u64_e32 vcc_lo, v[8:9], v[12:13]
	s_or_not1_b32 vcc_lo, vcc_lo, exec_lo
	s_branch .LBB2_1301
.LBB2_1308:                             ;   in Loop: Header=BB2_1160 Depth=2
	s_or_b32 exec_lo, exec_lo, s34
	s_and_saveexec_b32 vcc_lo, s35
	s_delay_alu instid0(SALU_CYCLE_1)
	s_xor_b32 vcc_lo, exec_lo, vcc_lo
	s_cbranch_execz .LBB2_1310
; %bb.1309:                             ;   in Loop: Header=BB2_1160 Depth=2
	ds_store_b32 v0, v115
	s_cbranch_execnz .LBB2_1938
.LBB2_1310:                             ;   in Loop: Header=BB2_1160 Depth=2
	s_or_b32 exec_lo, exec_lo, s31
	;;#ASMSTART
	s_wakeup
	;;#ASMEND
.LBB2_1311:                             ;   in Loop: Header=BB2_1160 Depth=2
	s_or_b32 exec_lo, exec_lo, s30
.LBB2_1312:                             ;   in Loop: Header=BB2_1160 Depth=2
	s_and_not1_saveexec_b32 s14, s14
	s_cbranch_execz .LBB2_1314
; %bb.1313:                             ;   in Loop: Header=BB2_1160 Depth=2
	;;#ASMSTART
	s_waitcnt lgkmcnt(0) vmcnt(0)
	;;#ASMEND
	s_waitcnt lgkmcnt(0)
	s_waitcnt_vscnt null, 0x0
	s_barrier
.LBB2_1314:                             ;   in Loop: Header=BB2_1160 Depth=2
	s_or_b32 exec_lo, exec_lo, s14
.LBB2_1315:                             ;   in Loop: Header=BB2_1160 Depth=2
	s_delay_alu instid0(SALU_CYCLE_1) | instskip(SKIP_2) | instid1(VALU_DEP_1)
	s_or_b32 exec_lo, exec_lo, s13
	v_and_b32_e32 v2, 32, v30
	s_mov_b32 s13, exec_lo
	v_cmpx_ne_u32_e32 0, v2
	s_cbranch_execz .LBB2_1317
; %bb.1316:                             ;   in Loop: Header=BB2_1160 Depth=2
	v_add_co_u32 v22, vcc_lo, v22, 2
	v_add_co_ci_u32_e32 v23, vcc_lo, 0, v23, vcc_lo
	s_waitcnt lgkmcnt(0)
	s_waitcnt_vscnt null, 0x0
	flat_store_b64 v[20:21], v[22:23]
.LBB2_1317:                             ;   in Loop: Header=BB2_1160 Depth=2
	s_or_b32 exec_lo, exec_lo, s13
	v_add_nc_u32_e32 v50, v49, v50
	s_xor_b32 s13, s17, -1
	v_mov_b32_e32 v2, s28
	s_mov_b32 s17, 0
	s_mov_b32 s28, 2
	v_cmp_ge_i32_e32 vcc_lo, v50, v48
	s_or_b32 s13, s13, vcc_lo
	s_delay_alu instid0(SALU_CYCLE_1) | instskip(NEXT) | instid1(SALU_CYCLE_1)
	s_and_b32 s13, exec_lo, s13
	s_or_b32 s16, s13, s16
	s_delay_alu instid0(SALU_CYCLE_1)
	s_and_not1_b32 exec_lo, exec_lo, s16
	s_cbranch_execnz .LBB2_1160
; %bb.1318:                             ;   in Loop: Header=BB2_51 Depth=1
	s_or_b32 exec_lo, exec_lo, s16
.LBB2_1319:                             ;   in Loop: Header=BB2_51 Depth=1
	s_delay_alu instid0(SALU_CYCLE_1) | instskip(NEXT) | instid1(SALU_CYCLE_1)
	s_or_b32 exec_lo, exec_lo, s15
	s_mov_b32 s14, exec_lo
	v_cmpx_gt_i32_e32 2, v2
	s_cbranch_execz .LBB2_1398
; %bb.1320:                             ;   in Loop: Header=BB2_51 Depth=1
	v_cmp_eq_u32_e64 s13, 0, v2
	s_mov_b32 s15, 0
.LBB2_1321:                             ;   Parent Loop BB2_51 Depth=1
                                        ; =>  This Loop Header: Depth=2
                                        ;       Child Loop BB2_1327 Depth 3
                                        ;       Child Loop BB2_1354 Depth 3
	;; [unrolled: 1-line block ×3, first 2 shown]
	v_and_b32_e32 v2, 4, v30
	s_mov_b32 s17, -1
	s_mov_b32 s16, exec_lo
	s_delay_alu instid0(VALU_DEP_1)
	v_cmpx_ne_u32_e32 0, v2
	s_cbranch_execz .LBB2_1335
; %bb.1322:                             ;   in Loop: Header=BB2_1321 Depth=2
	v_add_co_u32 v8, vcc_lo, v22, 2
	v_add_co_ci_u32_e32 v9, vcc_lo, 0, v23, vcc_lo
	v_mov_b32_e32 v2, 1
	s_mov_b32 s17, exec_lo
	s_delay_alu instid0(VALU_DEP_2)
	v_cmpx_lt_u64_e64 v[28:29], v[8:9]
	s_cbranch_execz .LBB2_1334
; %bb.1323:                             ;   in Loop: Header=BB2_1321 Depth=2
	v_mov_b32_e32 v2, 0
	s_mov_b32 s28, 0
                                        ; implicit-def: $sgpr30
	s_branch .LBB2_1327
.LBB2_1324:                             ;   in Loop: Header=BB2_1327 Depth=3
	s_or_b32 exec_lo, exec_lo, s36
	v_mov_b32_e32 v10, 0
	s_or_not1_b32 s35, s35, exec_lo
.LBB2_1325:                             ;   in Loop: Header=BB2_1327 Depth=3
	s_or_b32 exec_lo, exec_lo, s34
	s_delay_alu instid0(VALU_DEP_1) | instskip(SKIP_2) | instid1(SALU_CYCLE_1)
	v_mov_b32_e32 v2, v10
	s_and_not1_b32 vcc_lo, s30, exec_lo
	s_and_b32 s30, s35, exec_lo
	s_or_b32 s30, vcc_lo, s30
.LBB2_1326:                             ;   in Loop: Header=BB2_1327 Depth=3
	s_or_b32 exec_lo, exec_lo, s31
	s_waitcnt vmcnt(0) lgkmcnt(0)
	v_cmp_ge_u64_e32 vcc_lo, v[28:29], v[8:9]
	s_xor_b32 s31, s30, -1
	s_delay_alu instid0(SALU_CYCLE_1) | instskip(NEXT) | instid1(SALU_CYCLE_1)
	s_or_b32 vcc_lo, s31, vcc_lo
	s_and_b32 vcc_lo, exec_lo, vcc_lo
	s_delay_alu instid0(SALU_CYCLE_1) | instskip(NEXT) | instid1(SALU_CYCLE_1)
	s_or_b32 s28, vcc_lo, s28
	s_and_not1_b32 exec_lo, exec_lo, s28
	s_cbranch_execz .LBB2_1333
.LBB2_1327:                             ;   Parent Loop BB2_51 Depth=1
                                        ;     Parent Loop BB2_1321 Depth=2
                                        ; =>    This Inner Loop Header: Depth=3
	s_sleep 1
	flat_load_b64 v[28:29], v[20:21] glc
	v_and_b32_e32 v10, 64, v30
	s_and_not1_b32 s30, s30, exec_lo
	s_mov_b32 s31, exec_lo
	s_delay_alu instid0(VALU_DEP_1)
	v_cmpx_eq_u32_e32 0, v10
	s_cbranch_execz .LBB2_1326
; %bb.1328:                             ;   in Loop: Header=BB2_1327 Depth=3
	v_add_nc_u32_e32 v10, 1, v2
	s_mov_b32 s35, -1
	s_mov_b32 s34, exec_lo
	v_cmpx_lt_i32_e32 0x270e, v2
	s_cbranch_execz .LBB2_1325
; %bb.1329:                             ;   in Loop: Header=BB2_1327 Depth=3
	s_cbranch_execnz .LBB2_1610
; %bb.1330:                             ;   in Loop: Header=BB2_1327 Depth=3
	ds_load_b64 v[10:11], v0
	s_mov_b32 s36, exec_lo
	s_waitcnt vmcnt(0) lgkmcnt(0)
	s_waitcnt_vscnt null, 0x0
	flat_load_b32 v2, v[10:11] glc
	s_waitcnt vmcnt(0) lgkmcnt(0)
	buffer_gl1_inv
	buffer_gl0_inv
	v_cmpx_ne_u32_e32 0, v2
	s_cbranch_execz .LBB2_1324
; %bb.1331:                             ;   in Loop: Header=BB2_1327 Depth=3
	ds_store_b32 v0, v2
	s_cbranch_execnz .LBB2_1688
; %bb.1332:                             ;   in Loop: Header=BB2_1327 Depth=3
	v_or_b32_e32 v30, 64, v30
	s_xor_b32 s35, exec_lo, -1
	s_branch .LBB2_1324
.LBB2_1333:                             ;   in Loop: Header=BB2_1321 Depth=2
	s_or_b32 exec_lo, exec_lo, s28
	v_and_b32_e32 v2, 4, v30
.LBB2_1334:                             ;   in Loop: Header=BB2_1321 Depth=2
	s_or_b32 exec_lo, exec_lo, s17
	s_delay_alu instid0(VALU_DEP_1)
	v_cmp_eq_u32_e32 vcc_lo, 0, v2
	;;#ASMSTART
	s_wakeup
	;;#ASMEND
	s_or_not1_b32 s17, vcc_lo, exec_lo
.LBB2_1335:                             ;   in Loop: Header=BB2_1321 Depth=2
	s_or_b32 exec_lo, exec_lo, s16
	s_xor_b32 s13, s13, -1
	s_delay_alu instid0(SALU_CYCLE_1) | instskip(NEXT) | instid1(SALU_CYCLE_1)
	s_and_b32 s13, exec_lo, s13
	s_or_b32 s15, s13, s15
	s_xor_b32 s13, s17, -1
	s_delay_alu instid0(SALU_CYCLE_1)
	s_and_saveexec_b32 s16, s13
	s_cbranch_execz .LBB2_1345
; %bb.1336:                             ;   in Loop: Header=BB2_1321 Depth=2
	v_and_b32_e32 v2, 0x100, v30
	s_mov_b32 s13, -1
                                        ; implicit-def: $vgpr8_vgpr9
	s_delay_alu instid0(VALU_DEP_1)
	v_cmp_ne_u32_e32 vcc_lo, 0, v2
	v_and_b32_e32 v2, 7, v22
	s_and_saveexec_b32 s17, vcc_lo
	s_cbranch_execz .LBB2_1340
; %bb.1337:                             ;   in Loop: Header=BB2_1321 Depth=2
	s_delay_alu instid0(VALU_DEP_1) | instskip(SKIP_4) | instid1(VALU_DEP_1)
	v_mad_u64_u32 v[10:11], null, v2, 24, v[6:7]
	flat_load_b32 v8, v[10:11]
	s_waitcnt vmcnt(0) lgkmcnt(0)
	v_cmp_ne_u32_e32 vcc_lo, 1, v8
	v_cmp_eq_u32_e64 s13, 1, v8
                                        ; implicit-def: $vgpr8_vgpr9
	s_and_saveexec_b32 s28, s13
	s_cbranch_execz .LBB2_1339
; %bb.1338:                             ;   in Loop: Header=BB2_1321 Depth=2
	flat_load_b32 v8, v[10:11] offset:4 glc
	s_waitcnt vmcnt(0) lgkmcnt(0)
	v_ashrrev_i32_e32 v9, 31, v8
.LBB2_1339:                             ;   in Loop: Header=BB2_1321 Depth=2
	s_or_b32 exec_lo, exec_lo, s28
	s_delay_alu instid0(SALU_CYCLE_1)
	s_or_not1_b32 s13, vcc_lo, exec_lo
.LBB2_1340:                             ;   in Loop: Header=BB2_1321 Depth=2
	s_or_b32 exec_lo, exec_lo, s17
	s_and_saveexec_b32 s17, s13
; %bb.1341:                             ;   in Loop: Header=BB2_1321 Depth=2
	v_mad_i64_i32 v[8:9], null, v2, v68, 0
; %bb.1342:                             ;   in Loop: Header=BB2_1321 Depth=2
	s_or_b32 exec_lo, exec_lo, s17
	s_delay_alu instid0(VALU_DEP_1) | instskip(SKIP_1) | instid1(VALU_DEP_3)
	v_add_co_u32 v8, vcc_lo, v24, v8
	v_and_b32_e32 v2, 0x2000, v30
	v_add_co_ci_u32_e32 v9, vcc_lo, v25, v9, vcc_lo
	s_mov_b32 s13, exec_lo
	ds_store_b64 v0, v[8:9] offset:720
	v_cmpx_ne_u32_e32 0, v2
	s_cbranch_execz .LBB2_1344
; %bb.1343:                             ;   in Loop: Header=BB2_1321 Depth=2
	ds_load_b64 v[8:9], v0 offset:584
	s_waitcnt lgkmcnt(0)
	v_add_co_u32 v8, vcc_lo, v8, 1
	v_add_co_ci_u32_e32 v9, vcc_lo, 0, v9, vcc_lo
	ds_store_b64 v0, v[8:9] offset:584
.LBB2_1344:                             ;   in Loop: Header=BB2_1321 Depth=2
	s_or_b32 exec_lo, exec_lo, s13
	v_add_co_u32 v22, vcc_lo, v22, 2
	v_add_co_ci_u32_e32 v23, vcc_lo, 0, v23, vcc_lo
.LBB2_1345:                             ;   in Loop: Header=BB2_1321 Depth=2
	s_or_b32 exec_lo, exec_lo, s16
	s_and_saveexec_b32 s13, s3
	s_cbranch_execz .LBB2_1367
; %bb.1346:                             ;   in Loop: Header=BB2_1321 Depth=2
	s_and_saveexec_b32 s16, s4
	s_delay_alu instid0(SALU_CYCLE_1)
	s_xor_b32 s16, exec_lo, s16
	s_cbranch_execz .LBB2_1364
; %bb.1347:                             ;   in Loop: Header=BB2_1321 Depth=2
	s_and_saveexec_b32 s17, s1
	s_cbranch_execz .LBB2_1363
; %bb.1348:                             ;   in Loop: Header=BB2_1321 Depth=2
	s_mov_b32 s30, exec_lo
	s_mov_b32 s28, exec_lo
	v_mbcnt_lo_u32_b32 v2, s30, 0
	s_waitcnt lgkmcnt(0)
	s_waitcnt_vscnt null, 0x0
	buffer_gl1_inv
	buffer_gl0_inv
	v_cmpx_eq_u32_e32 0, v2
	s_cbranch_execz .LBB2_1350
; %bb.1349:                             ;   in Loop: Header=BB2_1321 Depth=2
	s_bcnt1_i32_b32 vcc_lo, s30
	s_delay_alu instid0(SALU_CYCLE_1)
	v_mov_b32_e32 v2, vcc_lo
	ds_add_u64 v0, v[2:3]
	s_cbranch_execnz .LBB2_1722
.LBB2_1350:                             ;   in Loop: Header=BB2_1321 Depth=2
	s_or_b32 exec_lo, exec_lo, s28
	s_cbranch_execnz .LBB2_1700
; %bb.1351:                             ;   in Loop: Header=BB2_1321 Depth=2
	ds_load_b64 v[8:9], v0
	v_add_co_u32 v12, vcc_lo, v12, v71
	v_add_co_ci_u32_e32 v13, vcc_lo, 0, v13, vcc_lo
	s_mov_b32 s28, exec_lo
	s_waitcnt lgkmcnt(0)
	s_delay_alu instid0(VALU_DEP_1)
	v_cmpx_lt_u64_e64 v[8:9], v[12:13]
	s_cbranch_execz .LBB2_1362
; %bb.1352:                             ;   in Loop: Header=BB2_1321 Depth=2
	s_mov_b32 s30, 0
	s_mov_b32 s35, 0
                                        ; implicit-def: $sgpr31
                                        ; implicit-def: $sgpr34
	s_branch .LBB2_1354
.LBB2_1353:                             ;   in Loop: Header=BB2_1354 Depth=3
	s_or_b32 exec_lo, exec_lo, s37
	s_delay_alu instid0(SALU_CYCLE_1) | instskip(NEXT) | instid1(SALU_CYCLE_1)
	s_and_b32 vcc_lo, exec_lo, vcc_lo
	s_or_b32 s30, vcc_lo, s30
	s_and_not1_b32 vcc_lo, s31, exec_lo
	s_and_b32 s31, s34, exec_lo
	s_delay_alu instid0(SALU_CYCLE_1)
	s_or_b32 s31, vcc_lo, s31
	s_and_not1_b32 exec_lo, exec_lo, s30
	s_cbranch_execz .LBB2_1360
.LBB2_1354:                             ;   Parent Loop BB2_51 Depth=1
                                        ;     Parent Loop BB2_1321 Depth=2
                                        ; =>    This Inner Loop Header: Depth=3
	s_add_i32 s35, s35, 1
                                        ; implicit-def: $sgpr37
	s_delay_alu instid0(SALU_CYCLE_1) | instskip(SKIP_1) | instid1(SALU_CYCLE_1)
	s_cmpk_lg_i32 s35, 0x2710
	s_cselect_b32 s36, -1, 0
	s_and_b32 vcc_lo, exec_lo, s36
	s_cbranch_vccz .LBB2_1358
.LBB2_1355:                             ;   in Loop: Header=BB2_1354 Depth=3
	s_and_not1_b32 s34, s34, exec_lo
	s_and_b32 s37, s37, exec_lo
	s_mov_b32 vcc_lo, -1
	s_or_b32 s34, s34, s37
	s_and_saveexec_b32 s37, s36
	s_cbranch_execz .LBB2_1353
; %bb.1356:                             ;   in Loop: Header=BB2_1354 Depth=3
	s_sleep 1
	s_cbranch_execnz .LBB2_1774
; %bb.1357:                             ;   in Loop: Header=BB2_1354 Depth=3
	ds_load_b64 v[8:9], v0
	s_and_not1_b32 s34, s34, exec_lo
	s_waitcnt lgkmcnt(0)
	v_cmp_ge_u64_e32 vcc_lo, v[8:9], v[12:13]
	s_or_not1_b32 vcc_lo, vcc_lo, exec_lo
	s_branch .LBB2_1353
.LBB2_1358:                             ;   in Loop: Header=BB2_1354 Depth=3
	s_cbranch_execnz .LBB2_1794
; %bb.1359:                             ;   in Loop: Header=BB2_1354 Depth=3
	ds_load_b64 v[8:9], v0
	s_and_not1_b32 s36, s36, exec_lo
	s_mov_b32 s35, 0
	s_mov_b32 s37, -1
	s_waitcnt lgkmcnt(0)
	flat_load_b32 v2, v[8:9] glc
	s_waitcnt vmcnt(0) lgkmcnt(0)
	buffer_gl1_inv
	buffer_gl0_inv
	v_cmp_eq_u32_e32 vcc_lo, 0, v2
	s_and_b32 vcc_lo, vcc_lo, exec_lo
	s_delay_alu instid0(SALU_CYCLE_1)
	s_or_b32 s36, s36, vcc_lo
	s_branch .LBB2_1355
.LBB2_1360:                             ;   in Loop: Header=BB2_1321 Depth=2
	s_or_b32 exec_lo, exec_lo, s30
	s_and_saveexec_b32 vcc_lo, s31
	s_delay_alu instid0(SALU_CYCLE_1)
	s_xor_b32 vcc_lo, exec_lo, vcc_lo
	s_cbranch_execz .LBB2_1362
; %bb.1361:                             ;   in Loop: Header=BB2_1321 Depth=2
	ds_store_b32 v0, v115
	s_cbranch_execnz .LBB2_1916
.LBB2_1362:                             ;   in Loop: Header=BB2_1321 Depth=2
	s_or_b32 exec_lo, exec_lo, s28
	;;#ASMSTART
	s_wakeup
	;;#ASMEND
.LBB2_1363:                             ;   in Loop: Header=BB2_1321 Depth=2
	s_or_b32 exec_lo, exec_lo, s17
.LBB2_1364:                             ;   in Loop: Header=BB2_1321 Depth=2
	s_and_not1_saveexec_b32 s16, s16
	s_cbranch_execz .LBB2_1366
; %bb.1365:                             ;   in Loop: Header=BB2_1321 Depth=2
	s_waitcnt lgkmcnt(0)
	s_waitcnt_vscnt null, 0x0
	buffer_gl1_inv
	buffer_gl0_inv
	s_barrier
.LBB2_1366:                             ;   in Loop: Header=BB2_1321 Depth=2
	s_or_b32 exec_lo, exec_lo, s16
.LBB2_1367:                             ;   in Loop: Header=BB2_1321 Depth=2
	s_delay_alu instid0(SALU_CYCLE_1) | instskip(SKIP_1) | instid1(VALU_DEP_1)
	s_or_b32 exec_lo, exec_lo, s13
	v_sub_nc_u32_e32 v2, v48, v50
	v_min_i32_e32 v49, v49, v2
	s_and_saveexec_b32 s13, s7
	s_delay_alu instid0(SALU_CYCLE_1)
	s_xor_b32 s16, exec_lo, s13
	s_cbranch_execz .LBB2_1372
; %bb.1368:                             ;   in Loop: Header=BB2_1321 Depth=2
	s_cbranch_execnz .LBB2_1606
; %bb.1369:                             ;   in Loop: Header=BB2_1321 Depth=2
	ds_load_b32 v2, v0
	v_cmp_lt_i32_e32 vcc_lo, 0, v49
	s_waitcnt lgkmcnt(0)
	v_readfirstlane_b32 s13, v2
	v_and_b32_e32 v2, 16, v30
	s_delay_alu instid0(VALU_DEP_2) | instskip(NEXT) | instid1(VALU_DEP_1)
	s_cmp_eq_u32 s13, 0
	v_cmp_ne_u32_e64 s13, 0, v2
	s_cselect_b32 s17, -1, 0
	s_delay_alu instid0(SALU_CYCLE_1)
	s_and_b32 s17, vcc_lo, s17
	s_delay_alu instid0(VALU_DEP_1) | instid1(SALU_CYCLE_1)
	s_and_b32 s17, s13, s17
	s_delay_alu instid0(SALU_CYCLE_1)
	s_and_saveexec_b32 s13, s17
	s_cbranch_execz .LBB2_1371
; %bb.1370:                             ;   in Loop: Header=BB2_1321 Depth=2
	s_waitcnt_vscnt null, 0x0
	buffer_gl1_inv
	buffer_gl0_inv
.LBB2_1371:                             ;   in Loop: Header=BB2_1321 Depth=2
	s_or_b32 exec_lo, exec_lo, s13
.LBB2_1372:                             ;   in Loop: Header=BB2_1321 Depth=2
	s_and_not1_saveexec_b32 s13, s16
	s_cbranch_execz .LBB2_1394
; %bb.1373:                             ;   in Loop: Header=BB2_1321 Depth=2
	s_and_saveexec_b32 s16, s4
	s_delay_alu instid0(SALU_CYCLE_1)
	s_xor_b32 s16, exec_lo, s16
	s_cbranch_execz .LBB2_1391
; %bb.1374:                             ;   in Loop: Header=BB2_1321 Depth=2
	s_and_saveexec_b32 s17, s1
	s_cbranch_execz .LBB2_1390
; %bb.1375:                             ;   in Loop: Header=BB2_1321 Depth=2
	s_mov_b32 s30, exec_lo
	s_mov_b32 s28, exec_lo
	v_mbcnt_lo_u32_b32 v2, s30, 0
	;;#ASMSTART
	s_waitcnt lgkmcnt(0) vmcnt(0)
	;;#ASMEND
	s_delay_alu instid0(VALU_DEP_1)
	v_cmpx_eq_u32_e32 0, v2
	s_cbranch_execz .LBB2_1377
; %bb.1376:                             ;   in Loop: Header=BB2_1321 Depth=2
	s_bcnt1_i32_b32 vcc_lo, s30
	s_delay_alu instid0(SALU_CYCLE_1)
	v_mov_b32_e32 v2, vcc_lo
	ds_add_u64 v0, v[2:3]
	s_cbranch_execnz .LBB2_1748
.LBB2_1377:                             ;   in Loop: Header=BB2_1321 Depth=2
	s_or_b32 exec_lo, exec_lo, s28
	s_cbranch_execnz .LBB2_1720
; %bb.1378:                             ;   in Loop: Header=BB2_1321 Depth=2
	ds_load_b64 v[8:9], v0
	v_add_co_u32 v12, vcc_lo, v12, v71
	v_add_co_ci_u32_e32 v13, vcc_lo, 0, v13, vcc_lo
	s_mov_b32 s28, exec_lo
	s_waitcnt lgkmcnt(0)
	s_delay_alu instid0(VALU_DEP_1)
	v_cmpx_lt_u64_e64 v[8:9], v[12:13]
	s_cbranch_execz .LBB2_1389
; %bb.1379:                             ;   in Loop: Header=BB2_1321 Depth=2
	s_mov_b32 s30, 0
	s_mov_b32 s35, 0
                                        ; implicit-def: $sgpr31
                                        ; implicit-def: $sgpr34
	s_branch .LBB2_1381
.LBB2_1380:                             ;   in Loop: Header=BB2_1381 Depth=3
	s_or_b32 exec_lo, exec_lo, s37
	s_delay_alu instid0(SALU_CYCLE_1) | instskip(NEXT) | instid1(SALU_CYCLE_1)
	s_and_b32 vcc_lo, exec_lo, vcc_lo
	s_or_b32 s30, vcc_lo, s30
	s_and_not1_b32 vcc_lo, s31, exec_lo
	s_and_b32 s31, s34, exec_lo
	s_delay_alu instid0(SALU_CYCLE_1)
	s_or_b32 s31, vcc_lo, s31
	s_and_not1_b32 exec_lo, exec_lo, s30
	s_cbranch_execz .LBB2_1387
.LBB2_1381:                             ;   Parent Loop BB2_51 Depth=1
                                        ;     Parent Loop BB2_1321 Depth=2
                                        ; =>    This Inner Loop Header: Depth=3
	s_add_i32 s35, s35, 1
                                        ; implicit-def: $sgpr37
	s_delay_alu instid0(SALU_CYCLE_1) | instskip(SKIP_1) | instid1(SALU_CYCLE_1)
	s_cmpk_lg_i32 s35, 0x2710
	s_cselect_b32 s36, -1, 0
	s_and_b32 vcc_lo, exec_lo, s36
	s_cbranch_vccz .LBB2_1385
.LBB2_1382:                             ;   in Loop: Header=BB2_1381 Depth=3
	s_and_not1_b32 s34, s34, exec_lo
	s_and_b32 s37, s37, exec_lo
	s_mov_b32 vcc_lo, -1
	s_or_b32 s34, s34, s37
	s_and_saveexec_b32 s37, s36
	s_cbranch_execz .LBB2_1380
; %bb.1383:                             ;   in Loop: Header=BB2_1381 Depth=3
	s_sleep 1
	s_cbranch_execnz .LBB2_1800
; %bb.1384:                             ;   in Loop: Header=BB2_1381 Depth=3
	ds_load_b64 v[8:9], v0
	s_and_not1_b32 s34, s34, exec_lo
	s_waitcnt lgkmcnt(0)
	v_cmp_ge_u64_e32 vcc_lo, v[8:9], v[12:13]
	s_or_not1_b32 vcc_lo, vcc_lo, exec_lo
	s_branch .LBB2_1380
.LBB2_1385:                             ;   in Loop: Header=BB2_1381 Depth=3
	s_cbranch_execnz .LBB2_1820
; %bb.1386:                             ;   in Loop: Header=BB2_1381 Depth=3
	ds_load_b64 v[8:9], v0
	s_and_not1_b32 s36, s36, exec_lo
	s_mov_b32 s35, 0
	s_mov_b32 s37, -1
	s_waitcnt lgkmcnt(0)
	s_waitcnt_vscnt null, 0x0
	flat_load_b32 v2, v[8:9] glc
	s_waitcnt vmcnt(0) lgkmcnt(0)
	buffer_gl1_inv
	buffer_gl0_inv
	v_cmp_eq_u32_e32 vcc_lo, 0, v2
	s_and_b32 vcc_lo, vcc_lo, exec_lo
	s_delay_alu instid0(SALU_CYCLE_1)
	s_or_b32 s36, s36, vcc_lo
	s_branch .LBB2_1382
.LBB2_1387:                             ;   in Loop: Header=BB2_1321 Depth=2
	s_or_b32 exec_lo, exec_lo, s30
	s_and_saveexec_b32 vcc_lo, s31
	s_delay_alu instid0(SALU_CYCLE_1)
	s_xor_b32 vcc_lo, exec_lo, vcc_lo
	s_cbranch_execz .LBB2_1389
; %bb.1388:                             ;   in Loop: Header=BB2_1321 Depth=2
	ds_store_b32 v0, v115
	s_cbranch_execnz .LBB2_1924
.LBB2_1389:                             ;   in Loop: Header=BB2_1321 Depth=2
	s_or_b32 exec_lo, exec_lo, s28
	;;#ASMSTART
	s_wakeup
	;;#ASMEND
.LBB2_1390:                             ;   in Loop: Header=BB2_1321 Depth=2
	s_or_b32 exec_lo, exec_lo, s17
.LBB2_1391:                             ;   in Loop: Header=BB2_1321 Depth=2
	s_and_not1_saveexec_b32 s16, s16
	s_cbranch_execz .LBB2_1393
; %bb.1392:                             ;   in Loop: Header=BB2_1321 Depth=2
	;;#ASMSTART
	s_waitcnt lgkmcnt(0) vmcnt(0)
	;;#ASMEND
	s_waitcnt lgkmcnt(0)
	s_waitcnt_vscnt null, 0x0
	s_barrier
.LBB2_1393:                             ;   in Loop: Header=BB2_1321 Depth=2
	s_or_b32 exec_lo, exec_lo, s16
.LBB2_1394:                             ;   in Loop: Header=BB2_1321 Depth=2
	s_delay_alu instid0(SALU_CYCLE_1) | instskip(SKIP_2) | instid1(VALU_DEP_1)
	s_or_b32 exec_lo, exec_lo, s13
	v_and_b32_e32 v2, 32, v30
	s_mov_b32 s13, exec_lo
	v_cmpx_ne_u32_e32 0, v2
	s_cbranch_execz .LBB2_1396
; %bb.1395:                             ;   in Loop: Header=BB2_1321 Depth=2
	v_add_co_u32 v22, vcc_lo, v22, 2
	v_add_co_ci_u32_e32 v23, vcc_lo, 0, v23, vcc_lo
	s_waitcnt lgkmcnt(0)
	s_waitcnt_vscnt null, 0x0
	flat_store_b64 v[20:21], v[22:23]
.LBB2_1396:                             ;   in Loop: Header=BB2_1321 Depth=2
	s_or_b32 exec_lo, exec_lo, s13
	v_add_nc_u32_e32 v50, v49, v50
	s_mov_b32 s13, 0
	s_and_not1_b32 exec_lo, exec_lo, s15
	s_cbranch_execnz .LBB2_1321
; %bb.1397:                             ;   in Loop: Header=BB2_51 Depth=1
	s_or_b32 exec_lo, exec_lo, s15
.LBB2_1398:                             ;   in Loop: Header=BB2_51 Depth=1
	s_delay_alu instid0(SALU_CYCLE_1)
	s_or_b32 exec_lo, exec_lo, s14
	v_add_co_u32 v36, vcc_lo, v36, v32
	v_add_co_ci_u32_e32 v37, vcc_lo, v37, v33, vcc_lo
	v_readlane_b32 s13, v78, 13
	v_readlane_b32 s28, v78, 9
	;; [unrolled: 1-line block ×3, first 2 shown]
	s_delay_alu instid0(VALU_DEP_4)
	v_cmp_ge_i64_e32 vcc_lo, v[36:37], v[4:5]
	v_readlane_b32 s34, v78, 10
	s_mov_b32 s14, s21
	s_mov_b32 s21, s13
	;; [unrolled: 1-line block ×4, first 2 shown]
	s_or_b32 s31, vcc_lo, s24
	v_readlane_b32 s24, v78, 7
	v_readlane_b32 s20, v78, 22
	s_mov_b32 s35, s19
	s_mov_b32 s19, s27
	;; [unrolled: 1-line block ×3, first 2 shown]
	s_and_not1_b32 exec_lo, exec_lo, s31
	s_cbranch_execnz .LBB2_51
; %bb.1399:
	s_or_b32 exec_lo, exec_lo, s31
.LBB2_1400:
	s_delay_alu instid0(SALU_CYCLE_1)
	s_or_b32 exec_lo, exec_lo, s24
; %bb.1401:
	v_and_b32_e32 v0, 0x800, v30
	s_mov_b32 s0, exec_lo
	s_delay_alu instid0(VALU_DEP_1)
	v_cmpx_eq_u32_e32 0, v0
	s_cbranch_execz .LBB2_1656
; %bb.1402:
	v_and_b32_e32 v0, 48, v30
	s_mov_b32 s1, exec_lo
	s_delay_alu instid0(VALU_DEP_1)
	v_cmpx_ne_u32_e32 0, v0
	s_cbranch_execz .LBB2_1404
; %bb.1403:
	flat_store_b64 v[18:19], v[22:23] offset:104
.LBB2_1404:
	s_or_b32 exec_lo, exec_lo, s1
	v_and_b32_e32 v0, 0x88, v30
	s_mov_b32 s1, exec_lo
	s_delay_alu instid0(VALU_DEP_1)
	v_cmpx_eq_u32_e32 0x88, v0
	s_cbranch_execz .LBB2_1454
; %bb.1405:
	v_add_nc_u32_e32 v0, 6, v22
	s_mov_b32 s2, 0
                                        ; implicit-def: $sgpr3
	s_delay_alu instid0(VALU_DEP_1) | instskip(NEXT) | instid1(VALU_DEP_1)
	v_and_b32_e32 v0, 7, v0
	v_mad_u64_u32 v[2:3], null, v0, 24, v[6:7]
	v_mov_b32_e32 v0, 0
	s_delay_alu instid0(VALU_DEP_2) | instskip(NEXT) | instid1(VALU_DEP_3)
	v_add_co_u32 v2, vcc_lo, v2, 8
	v_add_co_ci_u32_e32 v3, vcc_lo, 0, v3, vcc_lo
	s_branch .LBB2_1440
.LBB2_1406:
	s_trap 2
	s_sendmsg_rtn_b32 s0, sendmsg(MSG_RTN_GET_DOORBELL)
	s_mov_b32 ttmp2, m0
	s_waitcnt lgkmcnt(0)
	s_and_b32 s0, s0, 0x3ff
	s_delay_alu instid0(SALU_CYCLE_1) | instskip(NEXT) | instid1(SALU_CYCLE_1)
	s_bitset1_b32 s0, 10
	s_mov_b32 m0, s0
	s_sendmsg sendmsg(MSG_INTERRUPT)
	s_mov_b32 m0, ttmp2
.LBB2_1407:                             ; =>This Inner Loop Header: Depth=1
	s_sethalt 5
	s_branch .LBB2_1407
.LBB2_1408:
	v_bfe_u32 v9, v7, 8, 8
	v_not_b32_e32 v8, v8
	s_mov_b32 s1, exec_lo
                                        ; implicit-def: $vgpr32_vgpr33
                                        ; implicit-def: $vgpr14_vgpr15
                                        ; implicit-def: $vgpr4_vgpr5
	s_delay_alu instid0(VALU_DEP_2)
	v_cmpx_ne_u32_e64 v9, v6
	s_xor_b32 s1, exec_lo, s1
	s_cbranch_execz .LBB2_1410
; %bb.1409:
	s_clause 0x1
	flat_load_b128 v[9:12], v[2:3] offset:72
	flat_load_b64 v[4:5], v[2:3] offset:96
	v_add_nc_u32_e32 v6, v6, v8
                                        ; implicit-def: $vgpr8
	s_waitcnt vmcnt(0) lgkmcnt(0)
	v_lshrrev_b64 v[32:33], 12, v[4:5]
	v_dual_mov_b32 v4, v11 :: v_dual_mov_b32 v5, v12
	s_delay_alu instid0(VALU_DEP_3) | instskip(SKIP_2) | instid1(VALU_DEP_3)
	v_ashrrev_i32_e32 v7, 31, v6
	v_mad_u64_u32 v[14:15], null, v11, v6, v[9:10]
	v_mul_lo_u32 v6, v12, v6
                                        ; implicit-def: $vgpr9
	v_mul_lo_u32 v7, v11, v7
	s_delay_alu instid0(VALU_DEP_1)
	v_add3_u32 v15, v6, v15, v7
.LBB2_1410:
	s_and_not1_saveexec_b32 s1, s1
	s_cbranch_execz .LBB2_1412
; %bb.1411:
	s_clause 0x1
	flat_load_b128 v[10:13], v[2:3] offset:72
	flat_load_b128 v[4:7], v[2:3] offset:88
	s_waitcnt vmcnt(0) lgkmcnt(0)
	v_add_nc_u32_e32 v6, v9, v8
	s_delay_alu instid0(VALU_DEP_1) | instskip(NEXT) | instid1(VALU_DEP_1)
	v_ashrrev_i32_e32 v8, 31, v6
	v_mul_lo_u32 v8, v12, v8
	v_mad_u64_u32 v[14:15], null, v12, v6, v[10:11]
	v_mul_lo_u32 v6, v13, v6
	v_lshrrev_b32_e32 v32, 1, v7
	s_delay_alu instid0(VALU_DEP_2)
	v_add3_u32 v15, v6, v15, v8
.LBB2_1412:
	s_or_b32 exec_lo, exec_lo, s1
	s_and_not1_saveexec_b32 s0, s0
	s_cbranch_execz .LBB2_3
.LBB2_1413:
	s_clause 0x1
	flat_load_b64 v[6:7], v[2:3] offset:96
	flat_load_b64 v[4:5], v[2:3] offset:72
	v_mov_b32_e32 v14, 0
	v_mov_b32_e32 v15, 0
	s_waitcnt vmcnt(1) lgkmcnt(1)
	v_lshlrev_b64 v[32:33], 9, v[6:7]
	s_or_b32 exec_lo, exec_lo, s0
	s_cbranch_execz .LBB2_4
.LBB2_1414:
	s_trap 2
	s_sendmsg_rtn_b32 s0, sendmsg(MSG_RTN_GET_DOORBELL)
	s_mov_b32 ttmp2, m0
	s_waitcnt lgkmcnt(0)
	s_and_b32 s0, s0, 0x3ff
	s_delay_alu instid0(SALU_CYCLE_1) | instskip(NEXT) | instid1(SALU_CYCLE_1)
	s_bitset1_b32 s0, 10
	s_mov_b32 m0, s0
	s_sendmsg sendmsg(MSG_INTERRUPT)
	s_mov_b32 m0, ttmp2
.LBB2_1415:                             ; =>This Inner Loop Header: Depth=1
	s_sethalt 5
	s_branch .LBB2_1415
.LBB2_1416:
	s_trap 2
	s_sendmsg_rtn_b32 s0, sendmsg(MSG_RTN_GET_DOORBELL)
	s_mov_b32 ttmp2, m0
	s_waitcnt lgkmcnt(0)
	s_and_b32 s0, s0, 0x3ff
	s_delay_alu instid0(SALU_CYCLE_1) | instskip(NEXT) | instid1(SALU_CYCLE_1)
	s_bitset1_b32 s0, 10
	s_mov_b32 m0, s0
	s_sendmsg sendmsg(MSG_INTERRUPT)
	s_mov_b32 m0, ttmp2
.LBB2_1417:                             ; =>This Inner Loop Header: Depth=1
	s_sethalt 5
	s_branch .LBB2_1417
.LBB2_1418:
	s_trap 2
	s_sendmsg_rtn_b32 s0, sendmsg(MSG_RTN_GET_DOORBELL)
	s_mov_b32 ttmp2, m0
	s_waitcnt lgkmcnt(0)
	s_and_b32 s0, s0, 0x3ff
	s_delay_alu instid0(SALU_CYCLE_1) | instskip(NEXT) | instid1(SALU_CYCLE_1)
	s_bitset1_b32 s0, 10
	s_mov_b32 m0, s0
	s_sendmsg sendmsg(MSG_INTERRUPT)
	s_mov_b32 m0, ttmp2
.LBB2_1419:                             ; =>This Inner Loop Header: Depth=1
	s_sethalt 5
	s_branch .LBB2_1419
.LBB2_1420:
	s_trap 2
	s_sendmsg_rtn_b32 s0, sendmsg(MSG_RTN_GET_DOORBELL)
	s_mov_b32 ttmp2, m0
	s_waitcnt lgkmcnt(0)
	s_and_b32 s0, s0, 0x3ff
	s_delay_alu instid0(SALU_CYCLE_1) | instskip(NEXT) | instid1(SALU_CYCLE_1)
	s_bitset1_b32 s0, 10
	s_mov_b32 m0, s0
	s_sendmsg sendmsg(MSG_INTERRUPT)
	s_mov_b32 m0, ttmp2
.LBB2_1421:                             ; =>This Inner Loop Header: Depth=1
	s_sethalt 5
	s_branch .LBB2_1421
.LBB2_1422:
	s_trap 2
	s_sendmsg_rtn_b32 s0, sendmsg(MSG_RTN_GET_DOORBELL)
	s_mov_b32 ttmp2, m0
	s_waitcnt lgkmcnt(0)
	s_and_b32 s0, s0, 0x3ff
	s_delay_alu instid0(SALU_CYCLE_1) | instskip(NEXT) | instid1(SALU_CYCLE_1)
	s_bitset1_b32 s0, 10
	s_mov_b32 m0, s0
	s_sendmsg sendmsg(MSG_INTERRUPT)
	s_mov_b32 m0, ttmp2
.LBB2_1423:                             ; =>This Inner Loop Header: Depth=1
	s_sethalt 5
	s_branch .LBB2_1423
.LBB2_1424:
	s_trap 2
	s_sendmsg_rtn_b32 s0, sendmsg(MSG_RTN_GET_DOORBELL)
	s_mov_b32 ttmp2, m0
	s_waitcnt lgkmcnt(0)
	s_and_b32 s0, s0, 0x3ff
	s_delay_alu instid0(SALU_CYCLE_1) | instskip(NEXT) | instid1(SALU_CYCLE_1)
	s_bitset1_b32 s0, 10
	s_mov_b32 m0, s0
	s_sendmsg sendmsg(MSG_INTERRUPT)
	s_mov_b32 m0, ttmp2
.LBB2_1425:                             ; =>This Inner Loop Header: Depth=1
	s_sethalt 5
	s_branch .LBB2_1425
.LBB2_1426:
	s_trap 2
	s_sendmsg_rtn_b32 s0, sendmsg(MSG_RTN_GET_DOORBELL)
	s_mov_b32 ttmp2, m0
	s_waitcnt lgkmcnt(0)
	s_and_b32 s0, s0, 0x3ff
	s_delay_alu instid0(SALU_CYCLE_1) | instskip(NEXT) | instid1(SALU_CYCLE_1)
	s_bitset1_b32 s0, 10
	s_mov_b32 m0, s0
	s_sendmsg sendmsg(MSG_INTERRUPT)
	s_mov_b32 m0, ttmp2
.LBB2_1427:                             ; =>This Inner Loop Header: Depth=1
	s_sethalt 5
	s_branch .LBB2_1427
.LBB2_1428:
	s_trap 2
	s_sendmsg_rtn_b32 s0, sendmsg(MSG_RTN_GET_DOORBELL)
	s_mov_b32 ttmp2, m0
	s_waitcnt lgkmcnt(0)
	s_and_b32 s0, s0, 0x3ff
	s_delay_alu instid0(SALU_CYCLE_1) | instskip(NEXT) | instid1(SALU_CYCLE_1)
	s_bitset1_b32 s0, 10
	s_mov_b32 m0, s0
	s_sendmsg sendmsg(MSG_INTERRUPT)
	s_mov_b32 m0, ttmp2
.LBB2_1429:                             ; =>This Inner Loop Header: Depth=1
	s_sethalt 5
	s_branch .LBB2_1429
.LBB2_1430:
	s_trap 2
	s_sendmsg_rtn_b32 s0, sendmsg(MSG_RTN_GET_DOORBELL)
	s_mov_b32 ttmp2, m0
	s_waitcnt lgkmcnt(0)
	s_and_b32 s0, s0, 0x3ff
	s_delay_alu instid0(SALU_CYCLE_1) | instskip(NEXT) | instid1(SALU_CYCLE_1)
	s_bitset1_b32 s0, 10
	s_mov_b32 m0, s0
	s_sendmsg sendmsg(MSG_INTERRUPT)
	s_mov_b32 m0, ttmp2
.LBB2_1431:                             ; =>This Inner Loop Header: Depth=1
	s_sethalt 5
	s_branch .LBB2_1431
.LBB2_1432:
	s_trap 2
	s_sendmsg_rtn_b32 s0, sendmsg(MSG_RTN_GET_DOORBELL)
	s_mov_b32 ttmp2, m0
	s_waitcnt lgkmcnt(0)
	s_and_b32 s0, s0, 0x3ff
	s_delay_alu instid0(SALU_CYCLE_1) | instskip(NEXT) | instid1(SALU_CYCLE_1)
	s_bitset1_b32 s0, 10
	s_mov_b32 m0, s0
	s_sendmsg sendmsg(MSG_INTERRUPT)
	s_mov_b32 m0, ttmp2
.LBB2_1433:                             ; =>This Inner Loop Header: Depth=1
	s_sethalt 5
	s_branch .LBB2_1433
.LBB2_1434:
	s_trap 2
	s_sendmsg_rtn_b32 s0, sendmsg(MSG_RTN_GET_DOORBELL)
	s_mov_b32 ttmp2, m0
	s_waitcnt lgkmcnt(0)
	s_and_b32 s0, s0, 0x3ff
	s_delay_alu instid0(SALU_CYCLE_1) | instskip(NEXT) | instid1(SALU_CYCLE_1)
	s_bitset1_b32 s0, 10
	s_mov_b32 m0, s0
	s_sendmsg sendmsg(MSG_INTERRUPT)
	s_mov_b32 m0, ttmp2
.LBB2_1435:                             ; =>This Inner Loop Header: Depth=1
	s_sethalt 5
	s_branch .LBB2_1435
.LBB2_1436:                             ;   in Loop: Header=BB2_1440 Depth=1
	s_or_b32 exec_lo, exec_lo, s10
	v_mov_b32_e32 v4, 0
	s_or_not1_b32 s7, s7, exec_lo
.LBB2_1437:                             ;   in Loop: Header=BB2_1440 Depth=1
	s_or_b32 exec_lo, exec_lo, s6
	s_delay_alu instid0(VALU_DEP_1)
	v_mov_b32_e32 v0, v4
	s_and_b32 s6, s7, exec_lo
.LBB2_1438:                             ;   in Loop: Header=BB2_1440 Depth=1
	s_or_b32 exec_lo, exec_lo, s5
	s_xor_b32 s5, s6, -1
	s_and_not1_b32 s3, s3, exec_lo
	s_and_b32 s5, s5, exec_lo
	s_delay_alu instid0(SALU_CYCLE_1)
	s_or_b32 s3, s3, s5
.LBB2_1439:                             ;   in Loop: Header=BB2_1440 Depth=1
	s_or_b32 exec_lo, exec_lo, s4
	s_delay_alu instid0(SALU_CYCLE_1) | instskip(NEXT) | instid1(SALU_CYCLE_1)
	s_and_b32 s4, exec_lo, s3
	s_or_b32 s2, s4, s2
	s_delay_alu instid0(SALU_CYCLE_1)
	s_and_not1_b32 exec_lo, exec_lo, s2
	s_cbranch_execz .LBB2_1453
.LBB2_1440:                             ; =>This Inner Loop Header: Depth=1
	flat_load_b64 v[4:5], v[2:3] glc dlc
	s_waitcnt vmcnt(0)
	s_or_b32 s3, s3, exec_lo
	s_mov_b32 s4, exec_lo
	s_waitcnt lgkmcnt(0)
	v_cmpx_ne_u64_e32 -1, v[4:5]
	s_cbranch_execz .LBB2_1439
; %bb.1441:                             ;   in Loop: Header=BB2_1440 Depth=1
	v_and_b32_e32 v4, 64, v30
	s_mov_b32 s6, 0
	s_mov_b32 s5, exec_lo
	s_delay_alu instid0(VALU_DEP_1)
	v_cmpx_eq_u32_e32 0, v4
	s_cbranch_execz .LBB2_1438
; %bb.1442:                             ;   in Loop: Header=BB2_1440 Depth=1
	v_add_nc_u32_e32 v4, 1, v0
	s_mov_b32 s7, -1
	s_mov_b32 s6, exec_lo
	v_cmpx_lt_i32_e32 0x270e, v0
	s_cbranch_execz .LBB2_1437
; %bb.1443:                             ;   in Loop: Header=BB2_1440 Depth=1
	s_cbranch_execnz .LBB2_1447
; %bb.1444:                             ;   in Loop: Header=BB2_1440 Depth=1
	ds_load_b64 v[4:5], v0
	s_mov_b32 s10, exec_lo
	s_waitcnt lgkmcnt(0)
	s_waitcnt_vscnt null, 0x0
	flat_load_b32 v0, v[4:5] glc
	s_waitcnt vmcnt(0) lgkmcnt(0)
	buffer_gl1_inv
	buffer_gl0_inv
	v_cmpx_ne_u32_e32 0, v0
	s_cbranch_execz .LBB2_1436
; %bb.1445:                             ;   in Loop: Header=BB2_1440 Depth=1
	ds_store_b32 v0, v0
	s_cbranch_execnz .LBB2_1471
; %bb.1446:                             ;   in Loop: Header=BB2_1440 Depth=1
	v_or_b32_e32 v30, 64, v30
	s_xor_b32 s7, exec_lo, -1
	s_branch .LBB2_1436
.LBB2_1447:
	s_trap 2
	s_sendmsg_rtn_b32 s0, sendmsg(MSG_RTN_GET_DOORBELL)
	s_mov_b32 ttmp2, m0
	s_waitcnt lgkmcnt(0)
	s_and_b32 s0, s0, 0x3ff
	s_delay_alu instid0(SALU_CYCLE_1) | instskip(NEXT) | instid1(SALU_CYCLE_1)
	s_bitset1_b32 s0, 10
	s_mov_b32 m0, s0
	s_sendmsg sendmsg(MSG_INTERRUPT)
	s_mov_b32 m0, ttmp2
.LBB2_1448:                             ; =>This Inner Loop Header: Depth=1
	s_sethalt 5
	s_branch .LBB2_1448
.LBB2_1449:
	s_trap 2
	s_sendmsg_rtn_b32 s0, sendmsg(MSG_RTN_GET_DOORBELL)
	s_mov_b32 ttmp2, m0
	s_waitcnt lgkmcnt(0)
	s_and_b32 s0, s0, 0x3ff
	s_delay_alu instid0(SALU_CYCLE_1) | instskip(NEXT) | instid1(SALU_CYCLE_1)
	s_bitset1_b32 s0, 10
	s_mov_b32 m0, s0
	s_sendmsg sendmsg(MSG_INTERRUPT)
	s_mov_b32 m0, ttmp2
.LBB2_1450:                             ; =>This Inner Loop Header: Depth=1
	s_sethalt 5
	s_branch .LBB2_1450
.LBB2_1451:
	s_trap 2
	s_sendmsg_rtn_b32 s0, sendmsg(MSG_RTN_GET_DOORBELL)
	s_mov_b32 ttmp2, m0
	s_waitcnt lgkmcnt(0)
	s_and_b32 s0, s0, 0x3ff
	s_delay_alu instid0(SALU_CYCLE_1) | instskip(NEXT) | instid1(SALU_CYCLE_1)
	s_bitset1_b32 s0, 10
	s_mov_b32 m0, s0
	s_sendmsg sendmsg(MSG_INTERRUPT)
	s_mov_b32 m0, ttmp2
.LBB2_1452:                             ; =>This Inner Loop Header: Depth=1
	s_sethalt 5
	s_branch .LBB2_1452
.LBB2_1453:
	s_or_b32 exec_lo, exec_lo, s2
.LBB2_1454:
	s_delay_alu instid0(SALU_CYCLE_1) | instskip(SKIP_2) | instid1(VALU_DEP_1)
	s_or_b32 exec_lo, exec_lo, s1
	v_and_b32_e32 v0, 0x2000, v30
	s_mov_b32 s1, exec_lo
	v_cmpx_ne_u32_e32 0, v0
	s_cbranch_execz .LBB2_1457
; %bb.1455:
	s_cbranch_execnz .LBB2_1465
; %bb.1456:
	ds_load_b64 v[2:3], v0
	s_waitcnt lgkmcnt(0)
	flat_store_b64 v[16:17], v[2:3] offset:16
.LBB2_1457:
	s_or_b32 exec_lo, exec_lo, s1
	v_cmp_ne_u32_e32 vcc_lo, 32, v1
	s_and_b32 exec_lo, exec_lo, vcc_lo
	s_cbranch_execz .LBB2_1656
; %bb.1458:
	s_mov_b32 s1, exec_lo
	v_cmpx_ne_u32_e64 v69, v1
	s_xor_b32 s1, exec_lo, s1
	s_cbranch_execz .LBB2_1654
; %bb.1459:
	v_and_b32_e32 v0, 31, v31
	s_mov_b32 s2, exec_lo
	s_delay_alu instid0(VALU_DEP_1)
	v_cmpx_eq_u32_e32 0, v0
	s_cbranch_execz .LBB2_1653
; %bb.1460:
	s_mov_b32 s4, exec_lo
	s_mov_b32 s3, exec_lo
	v_mbcnt_lo_u32_b32 v0, s4, 0
	s_waitcnt lgkmcnt(0)
	s_waitcnt_vscnt null, 0x0
	buffer_gl1_inv
	buffer_gl0_inv
	v_cmpx_eq_u32_e32 0, v0
	s_cbranch_execz .LBB2_1462
; %bb.1461:
	s_bcnt1_i32_b32 s4, s4
	s_delay_alu instid0(SALU_CYCLE_1)
	v_dual_mov_b32 v3, 0 :: v_dual_mov_b32 v2, s4
	ds_add_u64 v0, v[2:3]
	s_cbranch_execnz .LBB2_1500
.LBB2_1462:
	s_or_b32 exec_lo, exec_lo, s3
	s_cbranch_execnz .LBB2_1479
; %bb.1463:
	v_ashrrev_i32_e32 v0, 31, v1
	s_mov_b32 s3, exec_lo
	s_delay_alu instid0(VALU_DEP_1) | instskip(NEXT) | instid1(VALU_DEP_1)
	v_lshrrev_b32_e32 v0, 27, v0
	v_add_nc_u32_e32 v0, v1, v0
	ds_load_b64 v[2:3], v0
	v_ashrrev_i32_e32 v0, 5, v0
	s_delay_alu instid0(VALU_DEP_1) | instskip(SKIP_1) | instid1(VALU_DEP_2)
	v_ashrrev_i32_e32 v1, 31, v0
	v_add_co_u32 v0, vcc_lo, v12, v0
	v_add_co_ci_u32_e32 v1, vcc_lo, v13, v1, vcc_lo
	s_waitcnt lgkmcnt(0)
	s_delay_alu instid0(VALU_DEP_1)
	v_cmpx_lt_u64_e64 v[2:3], v[0:1]
	s_cbranch_execz .LBB2_1652
; %bb.1464:
	s_mov_b32 s4, 0
	s_mov_b32 s7, 0
                                        ; implicit-def: $sgpr5
                                        ; implicit-def: $sgpr6
	s_branch .LBB2_1486
.LBB2_1465:
	s_trap 2
	s_sendmsg_rtn_b32 s0, sendmsg(MSG_RTN_GET_DOORBELL)
	s_mov_b32 ttmp2, m0
	s_waitcnt lgkmcnt(0)
	s_and_b32 s0, s0, 0x3ff
	s_delay_alu instid0(SALU_CYCLE_1) | instskip(NEXT) | instid1(SALU_CYCLE_1)
	s_bitset1_b32 s0, 10
	s_mov_b32 m0, s0
	s_sendmsg sendmsg(MSG_INTERRUPT)
	s_mov_b32 m0, ttmp2
.LBB2_1466:                             ; =>This Inner Loop Header: Depth=1
	s_sethalt 5
	s_branch .LBB2_1466
.LBB2_1467:
	s_trap 2
	s_sendmsg_rtn_b32 s0, sendmsg(MSG_RTN_GET_DOORBELL)
	s_mov_b32 ttmp2, m0
	s_waitcnt lgkmcnt(0)
	s_and_b32 s0, s0, 0x3ff
	s_delay_alu instid0(SALU_CYCLE_1) | instskip(NEXT) | instid1(SALU_CYCLE_1)
	s_bitset1_b32 s0, 10
	s_mov_b32 m0, s0
	s_sendmsg sendmsg(MSG_INTERRUPT)
	s_mov_b32 m0, ttmp2
.LBB2_1468:                             ; =>This Inner Loop Header: Depth=1
	s_sethalt 5
	s_branch .LBB2_1468
.LBB2_1469:
	s_trap 2
	s_sendmsg_rtn_b32 s0, sendmsg(MSG_RTN_GET_DOORBELL)
	s_mov_b32 ttmp2, m0
	s_waitcnt lgkmcnt(0)
	s_and_b32 s0, s0, 0x3ff
	s_delay_alu instid0(SALU_CYCLE_1) | instskip(NEXT) | instid1(SALU_CYCLE_1)
	s_bitset1_b32 s0, 10
	s_mov_b32 m0, s0
	s_sendmsg sendmsg(MSG_INTERRUPT)
	s_mov_b32 m0, ttmp2
.LBB2_1470:                             ; =>This Inner Loop Header: Depth=1
	s_sethalt 5
	s_branch .LBB2_1470
.LBB2_1471:
	s_trap 2
	s_sendmsg_rtn_b32 s0, sendmsg(MSG_RTN_GET_DOORBELL)
	s_mov_b32 ttmp2, m0
	s_waitcnt lgkmcnt(0)
	s_and_b32 s0, s0, 0x3ff
	s_delay_alu instid0(SALU_CYCLE_1) | instskip(NEXT) | instid1(SALU_CYCLE_1)
	s_bitset1_b32 s0, 10
	s_mov_b32 m0, s0
	s_sendmsg sendmsg(MSG_INTERRUPT)
	s_mov_b32 m0, ttmp2
.LBB2_1472:                             ; =>This Inner Loop Header: Depth=1
	s_sethalt 5
	s_branch .LBB2_1472
.LBB2_1473:
	s_trap 2
	s_sendmsg_rtn_b32 s0, sendmsg(MSG_RTN_GET_DOORBELL)
	s_mov_b32 ttmp2, m0
	s_waitcnt lgkmcnt(0)
	s_and_b32 s0, s0, 0x3ff
	s_delay_alu instid0(SALU_CYCLE_1) | instskip(NEXT) | instid1(SALU_CYCLE_1)
	s_bitset1_b32 s0, 10
	s_mov_b32 m0, s0
	s_sendmsg sendmsg(MSG_INTERRUPT)
	s_mov_b32 m0, ttmp2
.LBB2_1474:                             ; =>This Inner Loop Header: Depth=1
	s_sethalt 5
	s_branch .LBB2_1474
.LBB2_1475:
	s_trap 2
	s_sendmsg_rtn_b32 s0, sendmsg(MSG_RTN_GET_DOORBELL)
	s_mov_b32 ttmp2, m0
	s_waitcnt lgkmcnt(0)
	s_and_b32 s0, s0, 0x3ff
	s_delay_alu instid0(SALU_CYCLE_1) | instskip(NEXT) | instid1(SALU_CYCLE_1)
	s_bitset1_b32 s0, 10
	s_mov_b32 m0, s0
	s_sendmsg sendmsg(MSG_INTERRUPT)
	s_mov_b32 m0, ttmp2
.LBB2_1476:                             ; =>This Inner Loop Header: Depth=1
	s_sethalt 5
	s_branch .LBB2_1476
.LBB2_1477:
	s_trap 2
	s_sendmsg_rtn_b32 s0, sendmsg(MSG_RTN_GET_DOORBELL)
	s_mov_b32 ttmp2, m0
	s_waitcnt lgkmcnt(0)
	s_and_b32 s0, s0, 0x3ff
	s_delay_alu instid0(SALU_CYCLE_1) | instskip(NEXT) | instid1(SALU_CYCLE_1)
	s_bitset1_b32 s0, 10
	s_mov_b32 m0, s0
	s_sendmsg sendmsg(MSG_INTERRUPT)
	s_mov_b32 m0, ttmp2
.LBB2_1478:                             ; =>This Inner Loop Header: Depth=1
	s_sethalt 5
	s_branch .LBB2_1478
.LBB2_1479:
	s_trap 2
	s_sendmsg_rtn_b32 s0, sendmsg(MSG_RTN_GET_DOORBELL)
	s_mov_b32 ttmp2, m0
	s_waitcnt lgkmcnt(0)
	s_and_b32 s0, s0, 0x3ff
	s_delay_alu instid0(SALU_CYCLE_1) | instskip(NEXT) | instid1(SALU_CYCLE_1)
	s_bitset1_b32 s0, 10
	s_mov_b32 m0, s0
	s_sendmsg sendmsg(MSG_INTERRUPT)
	s_mov_b32 m0, ttmp2
.LBB2_1480:                             ; =>This Inner Loop Header: Depth=1
	s_sethalt 5
	s_branch .LBB2_1480
.LBB2_1481:
	s_trap 2
	s_sendmsg_rtn_b32 s0, sendmsg(MSG_RTN_GET_DOORBELL)
	s_mov_b32 ttmp2, m0
	s_waitcnt lgkmcnt(0)
	s_and_b32 s0, s0, 0x3ff
	s_delay_alu instid0(SALU_CYCLE_1) | instskip(NEXT) | instid1(SALU_CYCLE_1)
	s_bitset1_b32 s0, 10
	s_mov_b32 m0, s0
	s_sendmsg sendmsg(MSG_INTERRUPT)
	s_mov_b32 m0, ttmp2
.LBB2_1482:                             ; =>This Inner Loop Header: Depth=1
	s_sethalt 5
	s_branch .LBB2_1482
.LBB2_1483:
	s_trap 2
	s_sendmsg_rtn_b32 s0, sendmsg(MSG_RTN_GET_DOORBELL)
	s_mov_b32 ttmp2, m0
	s_waitcnt lgkmcnt(0)
	s_and_b32 s0, s0, 0x3ff
	s_delay_alu instid0(SALU_CYCLE_1) | instskip(NEXT) | instid1(SALU_CYCLE_1)
	s_bitset1_b32 s0, 10
	s_mov_b32 m0, s0
	s_sendmsg sendmsg(MSG_INTERRUPT)
	s_mov_b32 m0, ttmp2
.LBB2_1484:                             ; =>This Inner Loop Header: Depth=1
	s_sethalt 5
	s_branch .LBB2_1484
.LBB2_1485:                             ;   in Loop: Header=BB2_1486 Depth=1
	s_or_b32 exec_lo, exec_lo, s12
	s_delay_alu instid0(SALU_CYCLE_1) | instskip(NEXT) | instid1(SALU_CYCLE_1)
	s_and_b32 s10, exec_lo, s11
	s_or_b32 s4, s10, s4
	s_and_not1_b32 s5, s5, exec_lo
	s_and_b32 s10, s6, exec_lo
	s_delay_alu instid0(SALU_CYCLE_1)
	s_or_b32 s5, s5, s10
	s_and_not1_b32 exec_lo, exec_lo, s4
	s_cbranch_execz .LBB2_1650
.LBB2_1486:                             ; =>This Inner Loop Header: Depth=1
	s_add_i32 s7, s7, 1
                                        ; implicit-def: $sgpr11
	s_delay_alu instid0(SALU_CYCLE_1) | instskip(SKIP_1) | instid1(SALU_CYCLE_1)
	s_cmpk_lg_i32 s7, 0x2710
	s_cselect_b32 s10, -1, 0
	s_and_b32 vcc_lo, exec_lo, s10
	s_cbranch_vccz .LBB2_1490
.LBB2_1487:                             ;   in Loop: Header=BB2_1486 Depth=1
	s_and_not1_b32 s6, s6, exec_lo
	s_and_b32 s12, s11, exec_lo
	s_mov_b32 s11, -1
	s_or_b32 s6, s6, s12
	s_and_saveexec_b32 s12, s10
	s_cbranch_execz .LBB2_1485
; %bb.1488:                             ;   in Loop: Header=BB2_1486 Depth=1
	s_sleep 1
	s_cbranch_execnz .LBB2_1538
; %bb.1489:                             ;   in Loop: Header=BB2_1486 Depth=1
	ds_load_b64 v[2:3], v0
	s_and_not1_b32 s6, s6, exec_lo
	s_waitcnt lgkmcnt(0)
	v_cmp_ge_u64_e32 vcc_lo, v[2:3], v[0:1]
	s_or_not1_b32 s11, vcc_lo, exec_lo
	s_branch .LBB2_1485
.LBB2_1490:                             ;   in Loop: Header=BB2_1486 Depth=1
	s_cbranch_execnz .LBB2_1540
; %bb.1491:                             ;   in Loop: Header=BB2_1486 Depth=1
	ds_load_b64 v[2:3], v0
	s_and_not1_b32 s10, s10, exec_lo
	s_mov_b32 s7, 0
	s_mov_b32 s11, -1
	s_waitcnt lgkmcnt(0)
	flat_load_b32 v2, v[2:3] glc
	s_waitcnt vmcnt(0) lgkmcnt(0)
	buffer_gl1_inv
	buffer_gl0_inv
	v_cmp_eq_u32_e32 vcc_lo, 0, v2
	s_and_b32 s12, vcc_lo, exec_lo
	s_delay_alu instid0(SALU_CYCLE_1)
	s_or_b32 s10, s10, s12
	s_branch .LBB2_1487
.LBB2_1492:
	s_trap 2
	s_sendmsg_rtn_b32 s0, sendmsg(MSG_RTN_GET_DOORBELL)
	s_mov_b32 ttmp2, m0
	s_waitcnt lgkmcnt(0)
	s_and_b32 s0, s0, 0x3ff
	s_delay_alu instid0(SALU_CYCLE_1) | instskip(NEXT) | instid1(SALU_CYCLE_1)
	s_bitset1_b32 s0, 10
	s_mov_b32 m0, s0
	s_sendmsg sendmsg(MSG_INTERRUPT)
	s_mov_b32 m0, ttmp2
.LBB2_1493:                             ; =>This Inner Loop Header: Depth=1
	s_sethalt 5
	s_branch .LBB2_1493
.LBB2_1494:
	s_trap 2
	s_sendmsg_rtn_b32 s0, sendmsg(MSG_RTN_GET_DOORBELL)
	s_mov_b32 ttmp2, m0
	s_waitcnt lgkmcnt(0)
	s_and_b32 s0, s0, 0x3ff
	s_delay_alu instid0(SALU_CYCLE_1) | instskip(NEXT) | instid1(SALU_CYCLE_1)
	s_bitset1_b32 s0, 10
	s_mov_b32 m0, s0
	s_sendmsg sendmsg(MSG_INTERRUPT)
	s_mov_b32 m0, ttmp2
.LBB2_1495:                             ; =>This Inner Loop Header: Depth=1
	s_sethalt 5
	s_branch .LBB2_1495
.LBB2_1496:
	s_trap 2
	s_sendmsg_rtn_b32 s0, sendmsg(MSG_RTN_GET_DOORBELL)
	s_mov_b32 ttmp2, m0
	s_waitcnt lgkmcnt(0)
	s_and_b32 s0, s0, 0x3ff
	s_delay_alu instid0(SALU_CYCLE_1) | instskip(NEXT) | instid1(SALU_CYCLE_1)
	s_bitset1_b32 s0, 10
	s_mov_b32 m0, s0
	s_sendmsg sendmsg(MSG_INTERRUPT)
	s_mov_b32 m0, ttmp2
.LBB2_1497:                             ; =>This Inner Loop Header: Depth=1
	s_sethalt 5
	s_branch .LBB2_1497
.LBB2_1498:
	s_trap 2
	s_sendmsg_rtn_b32 s0, sendmsg(MSG_RTN_GET_DOORBELL)
	s_mov_b32 ttmp2, m0
	s_waitcnt lgkmcnt(0)
	s_and_b32 s0, s0, 0x3ff
	s_delay_alu instid0(SALU_CYCLE_1) | instskip(NEXT) | instid1(SALU_CYCLE_1)
	s_bitset1_b32 s0, 10
	s_mov_b32 m0, s0
	s_sendmsg sendmsg(MSG_INTERRUPT)
	s_mov_b32 m0, ttmp2
.LBB2_1499:                             ; =>This Inner Loop Header: Depth=1
	s_sethalt 5
	s_branch .LBB2_1499
.LBB2_1500:
	s_trap 2
	s_sendmsg_rtn_b32 s0, sendmsg(MSG_RTN_GET_DOORBELL)
	s_mov_b32 ttmp2, m0
	s_waitcnt lgkmcnt(0)
	s_and_b32 s0, s0, 0x3ff
	s_delay_alu instid0(SALU_CYCLE_1) | instskip(NEXT) | instid1(SALU_CYCLE_1)
	s_bitset1_b32 s0, 10
	s_mov_b32 m0, s0
	s_sendmsg sendmsg(MSG_INTERRUPT)
	s_mov_b32 m0, ttmp2
.LBB2_1501:                             ; =>This Inner Loop Header: Depth=1
	s_sethalt 5
	s_branch .LBB2_1501
.LBB2_1502:
	s_trap 2
	s_sendmsg_rtn_b32 s0, sendmsg(MSG_RTN_GET_DOORBELL)
	s_mov_b32 ttmp2, m0
	s_waitcnt lgkmcnt(0)
	s_and_b32 s0, s0, 0x3ff
	s_delay_alu instid0(SALU_CYCLE_1) | instskip(NEXT) | instid1(SALU_CYCLE_1)
	s_bitset1_b32 s0, 10
	s_mov_b32 m0, s0
	s_sendmsg sendmsg(MSG_INTERRUPT)
	s_mov_b32 m0, ttmp2
.LBB2_1503:                             ; =>This Inner Loop Header: Depth=1
	s_sethalt 5
	s_branch .LBB2_1503
.LBB2_1504:
	s_trap 2
	s_sendmsg_rtn_b32 s0, sendmsg(MSG_RTN_GET_DOORBELL)
	s_mov_b32 ttmp2, m0
	s_waitcnt lgkmcnt(0)
	s_and_b32 s0, s0, 0x3ff
	s_delay_alu instid0(SALU_CYCLE_1) | instskip(NEXT) | instid1(SALU_CYCLE_1)
	s_bitset1_b32 s0, 10
	s_mov_b32 m0, s0
	s_sendmsg sendmsg(MSG_INTERRUPT)
	s_mov_b32 m0, ttmp2
.LBB2_1505:                             ; =>This Inner Loop Header: Depth=1
	s_sethalt 5
	s_branch .LBB2_1505
.LBB2_1506:
	s_trap 2
	s_sendmsg_rtn_b32 s0, sendmsg(MSG_RTN_GET_DOORBELL)
	s_mov_b32 ttmp2, m0
	s_waitcnt lgkmcnt(0)
	s_and_b32 s0, s0, 0x3ff
	s_delay_alu instid0(SALU_CYCLE_1) | instskip(NEXT) | instid1(SALU_CYCLE_1)
	s_bitset1_b32 s0, 10
	s_mov_b32 m0, s0
	s_sendmsg sendmsg(MSG_INTERRUPT)
	s_mov_b32 m0, ttmp2
.LBB2_1507:                             ; =>This Inner Loop Header: Depth=1
	s_sethalt 5
	s_branch .LBB2_1507
.LBB2_1508:
	s_trap 2
	s_sendmsg_rtn_b32 s0, sendmsg(MSG_RTN_GET_DOORBELL)
	s_mov_b32 ttmp2, m0
	s_waitcnt lgkmcnt(0)
	s_and_b32 s0, s0, 0x3ff
	s_delay_alu instid0(SALU_CYCLE_1) | instskip(NEXT) | instid1(SALU_CYCLE_1)
	s_bitset1_b32 s0, 10
	s_mov_b32 m0, s0
	s_sendmsg sendmsg(MSG_INTERRUPT)
	s_mov_b32 m0, ttmp2
.LBB2_1509:                             ; =>This Inner Loop Header: Depth=1
	s_sethalt 5
	s_branch .LBB2_1509
.LBB2_1510:
	s_trap 2
	s_sendmsg_rtn_b32 s0, sendmsg(MSG_RTN_GET_DOORBELL)
	s_mov_b32 ttmp2, m0
	s_waitcnt lgkmcnt(0)
	s_and_b32 s0, s0, 0x3ff
	s_delay_alu instid0(SALU_CYCLE_1) | instskip(NEXT) | instid1(SALU_CYCLE_1)
	s_bitset1_b32 s0, 10
	s_mov_b32 m0, s0
	s_sendmsg sendmsg(MSG_INTERRUPT)
	s_mov_b32 m0, ttmp2
.LBB2_1511:                             ; =>This Inner Loop Header: Depth=1
	s_sethalt 5
	s_branch .LBB2_1511
.LBB2_1512:
	s_trap 2
	s_sendmsg_rtn_b32 s0, sendmsg(MSG_RTN_GET_DOORBELL)
	s_mov_b32 ttmp2, m0
	s_waitcnt lgkmcnt(0)
	s_and_b32 s0, s0, 0x3ff
	s_delay_alu instid0(SALU_CYCLE_1) | instskip(NEXT) | instid1(SALU_CYCLE_1)
	s_bitset1_b32 s0, 10
	s_mov_b32 m0, s0
	s_sendmsg sendmsg(MSG_INTERRUPT)
	s_mov_b32 m0, ttmp2
.LBB2_1513:                             ; =>This Inner Loop Header: Depth=1
	s_sethalt 5
	s_branch .LBB2_1513
.LBB2_1514:
	s_trap 2
	s_sendmsg_rtn_b32 s0, sendmsg(MSG_RTN_GET_DOORBELL)
	s_mov_b32 ttmp2, m0
	s_waitcnt lgkmcnt(0)
	s_and_b32 s0, s0, 0x3ff
	s_delay_alu instid0(SALU_CYCLE_1) | instskip(NEXT) | instid1(SALU_CYCLE_1)
	s_bitset1_b32 s0, 10
	s_mov_b32 m0, s0
	s_sendmsg sendmsg(MSG_INTERRUPT)
	s_mov_b32 m0, ttmp2
.LBB2_1515:                             ; =>This Inner Loop Header: Depth=1
	s_sethalt 5
	s_branch .LBB2_1515
.LBB2_1516:
	s_trap 2
	s_sendmsg_rtn_b32 s0, sendmsg(MSG_RTN_GET_DOORBELL)
	s_mov_b32 ttmp2, m0
	s_waitcnt lgkmcnt(0)
	s_and_b32 s0, s0, 0x3ff
	s_delay_alu instid0(SALU_CYCLE_1) | instskip(NEXT) | instid1(SALU_CYCLE_1)
	s_bitset1_b32 s0, 10
	s_mov_b32 m0, s0
	s_sendmsg sendmsg(MSG_INTERRUPT)
	s_mov_b32 m0, ttmp2
.LBB2_1517:                             ; =>This Inner Loop Header: Depth=1
	s_sethalt 5
	s_branch .LBB2_1517
.LBB2_1518:
	s_trap 2
	s_sendmsg_rtn_b32 s0, sendmsg(MSG_RTN_GET_DOORBELL)
	s_mov_b32 ttmp2, m0
	s_waitcnt lgkmcnt(0)
	s_and_b32 s0, s0, 0x3ff
	s_delay_alu instid0(SALU_CYCLE_1) | instskip(NEXT) | instid1(SALU_CYCLE_1)
	s_bitset1_b32 s0, 10
	s_mov_b32 m0, s0
	s_sendmsg sendmsg(MSG_INTERRUPT)
	s_mov_b32 m0, ttmp2
.LBB2_1519:                             ; =>This Inner Loop Header: Depth=1
	s_sethalt 5
	s_branch .LBB2_1519
.LBB2_1520:
	s_trap 2
	s_sendmsg_rtn_b32 s0, sendmsg(MSG_RTN_GET_DOORBELL)
	s_mov_b32 ttmp2, m0
	s_waitcnt lgkmcnt(0)
	s_and_b32 s0, s0, 0x3ff
	s_delay_alu instid0(SALU_CYCLE_1) | instskip(NEXT) | instid1(SALU_CYCLE_1)
	s_bitset1_b32 s0, 10
	s_mov_b32 m0, s0
	s_sendmsg sendmsg(MSG_INTERRUPT)
	s_mov_b32 m0, ttmp2
.LBB2_1521:                             ; =>This Inner Loop Header: Depth=1
	s_sethalt 5
	s_branch .LBB2_1521
.LBB2_1522:
	s_trap 2
	s_sendmsg_rtn_b32 s0, sendmsg(MSG_RTN_GET_DOORBELL)
	s_mov_b32 ttmp2, m0
	s_waitcnt lgkmcnt(0)
	s_and_b32 s0, s0, 0x3ff
	s_delay_alu instid0(SALU_CYCLE_1) | instskip(NEXT) | instid1(SALU_CYCLE_1)
	s_bitset1_b32 s0, 10
	s_mov_b32 m0, s0
	s_sendmsg sendmsg(MSG_INTERRUPT)
	s_mov_b32 m0, ttmp2
.LBB2_1523:                             ; =>This Inner Loop Header: Depth=1
	s_sethalt 5
	s_branch .LBB2_1523
.LBB2_1524:
	s_trap 2
	s_sendmsg_rtn_b32 s0, sendmsg(MSG_RTN_GET_DOORBELL)
	s_mov_b32 ttmp2, m0
	s_waitcnt lgkmcnt(0)
	s_and_b32 s0, s0, 0x3ff
	s_delay_alu instid0(SALU_CYCLE_1) | instskip(NEXT) | instid1(SALU_CYCLE_1)
	s_bitset1_b32 s0, 10
	s_mov_b32 m0, s0
	s_sendmsg sendmsg(MSG_INTERRUPT)
	s_mov_b32 m0, ttmp2
.LBB2_1525:                             ; =>This Inner Loop Header: Depth=1
	s_sethalt 5
	s_branch .LBB2_1525
.LBB2_1526:
	s_trap 2
	s_sendmsg_rtn_b32 s0, sendmsg(MSG_RTN_GET_DOORBELL)
	s_mov_b32 ttmp2, m0
	s_waitcnt lgkmcnt(0)
	s_and_b32 s0, s0, 0x3ff
	s_delay_alu instid0(SALU_CYCLE_1) | instskip(NEXT) | instid1(SALU_CYCLE_1)
	s_bitset1_b32 s0, 10
	s_mov_b32 m0, s0
	s_sendmsg sendmsg(MSG_INTERRUPT)
	s_mov_b32 m0, ttmp2
.LBB2_1527:                             ; =>This Inner Loop Header: Depth=1
	s_sethalt 5
	s_branch .LBB2_1527
.LBB2_1528:
	s_trap 2
	s_sendmsg_rtn_b32 s0, sendmsg(MSG_RTN_GET_DOORBELL)
	s_mov_b32 ttmp2, m0
	s_waitcnt lgkmcnt(0)
	s_and_b32 s0, s0, 0x3ff
	s_delay_alu instid0(SALU_CYCLE_1) | instskip(NEXT) | instid1(SALU_CYCLE_1)
	s_bitset1_b32 s0, 10
	s_mov_b32 m0, s0
	s_sendmsg sendmsg(MSG_INTERRUPT)
	s_mov_b32 m0, ttmp2
.LBB2_1529:                             ; =>This Inner Loop Header: Depth=1
	s_sethalt 5
	s_branch .LBB2_1529
.LBB2_1530:
	s_trap 2
	s_sendmsg_rtn_b32 s0, sendmsg(MSG_RTN_GET_DOORBELL)
	s_mov_b32 ttmp2, m0
	s_waitcnt lgkmcnt(0)
	s_and_b32 s0, s0, 0x3ff
	s_delay_alu instid0(SALU_CYCLE_1) | instskip(NEXT) | instid1(SALU_CYCLE_1)
	s_bitset1_b32 s0, 10
	s_mov_b32 m0, s0
	s_sendmsg sendmsg(MSG_INTERRUPT)
	s_mov_b32 m0, ttmp2
.LBB2_1531:                             ; =>This Inner Loop Header: Depth=1
	s_sethalt 5
	s_branch .LBB2_1531
.LBB2_1532:
	s_trap 2
	s_sendmsg_rtn_b32 s0, sendmsg(MSG_RTN_GET_DOORBELL)
	s_mov_b32 ttmp2, m0
	s_waitcnt lgkmcnt(0)
	s_and_b32 s0, s0, 0x3ff
	s_delay_alu instid0(SALU_CYCLE_1) | instskip(NEXT) | instid1(SALU_CYCLE_1)
	s_bitset1_b32 s0, 10
	s_mov_b32 m0, s0
	s_sendmsg sendmsg(MSG_INTERRUPT)
	s_mov_b32 m0, ttmp2
.LBB2_1533:                             ; =>This Inner Loop Header: Depth=1
	s_sethalt 5
	s_branch .LBB2_1533
.LBB2_1534:
	s_trap 2
	s_sendmsg_rtn_b32 s0, sendmsg(MSG_RTN_GET_DOORBELL)
	s_mov_b32 ttmp2, m0
	s_waitcnt lgkmcnt(0)
	s_and_b32 s0, s0, 0x3ff
	s_delay_alu instid0(SALU_CYCLE_1) | instskip(NEXT) | instid1(SALU_CYCLE_1)
	s_bitset1_b32 s0, 10
	s_mov_b32 m0, s0
	s_sendmsg sendmsg(MSG_INTERRUPT)
	s_mov_b32 m0, ttmp2
.LBB2_1535:                             ; =>This Inner Loop Header: Depth=1
	s_sethalt 5
	s_branch .LBB2_1535
.LBB2_1536:
	s_trap 2
	s_sendmsg_rtn_b32 s0, sendmsg(MSG_RTN_GET_DOORBELL)
	s_mov_b32 ttmp2, m0
	s_waitcnt lgkmcnt(0)
	s_and_b32 s0, s0, 0x3ff
	s_delay_alu instid0(SALU_CYCLE_1) | instskip(NEXT) | instid1(SALU_CYCLE_1)
	s_bitset1_b32 s0, 10
	s_mov_b32 m0, s0
	s_sendmsg sendmsg(MSG_INTERRUPT)
	s_mov_b32 m0, ttmp2
.LBB2_1537:                             ; =>This Inner Loop Header: Depth=1
	s_sethalt 5
	s_branch .LBB2_1537
.LBB2_1538:
	s_trap 2
	s_sendmsg_rtn_b32 s0, sendmsg(MSG_RTN_GET_DOORBELL)
	s_mov_b32 ttmp2, m0
	s_waitcnt lgkmcnt(0)
	s_and_b32 s0, s0, 0x3ff
	s_delay_alu instid0(SALU_CYCLE_1) | instskip(NEXT) | instid1(SALU_CYCLE_1)
	s_bitset1_b32 s0, 10
	s_mov_b32 m0, s0
	s_sendmsg sendmsg(MSG_INTERRUPT)
	s_mov_b32 m0, ttmp2
.LBB2_1539:                             ; =>This Inner Loop Header: Depth=1
	s_sethalt 5
	s_branch .LBB2_1539
.LBB2_1540:
	s_trap 2
	s_sendmsg_rtn_b32 s0, sendmsg(MSG_RTN_GET_DOORBELL)
	s_mov_b32 ttmp2, m0
	s_waitcnt lgkmcnt(0)
	s_and_b32 s0, s0, 0x3ff
	s_delay_alu instid0(SALU_CYCLE_1) | instskip(NEXT) | instid1(SALU_CYCLE_1)
	s_bitset1_b32 s0, 10
	s_mov_b32 m0, s0
	s_sendmsg sendmsg(MSG_INTERRUPT)
	s_mov_b32 m0, ttmp2
.LBB2_1541:                             ; =>This Inner Loop Header: Depth=1
	s_sethalt 5
	s_branch .LBB2_1541
.LBB2_1542:
	s_trap 2
	s_sendmsg_rtn_b32 s0, sendmsg(MSG_RTN_GET_DOORBELL)
	s_mov_b32 ttmp2, m0
	s_waitcnt lgkmcnt(0)
	s_and_b32 s0, s0, 0x3ff
	s_delay_alu instid0(SALU_CYCLE_1) | instskip(NEXT) | instid1(SALU_CYCLE_1)
	s_bitset1_b32 s0, 10
	s_mov_b32 m0, s0
	s_sendmsg sendmsg(MSG_INTERRUPT)
	s_mov_b32 m0, ttmp2
.LBB2_1543:                             ; =>This Inner Loop Header: Depth=1
	s_sethalt 5
	s_branch .LBB2_1543
.LBB2_1544:
	s_trap 2
	s_sendmsg_rtn_b32 s0, sendmsg(MSG_RTN_GET_DOORBELL)
	s_mov_b32 ttmp2, m0
	s_waitcnt lgkmcnt(0)
	s_and_b32 s0, s0, 0x3ff
	s_delay_alu instid0(SALU_CYCLE_1) | instskip(NEXT) | instid1(SALU_CYCLE_1)
	s_bitset1_b32 s0, 10
	s_mov_b32 m0, s0
	s_sendmsg sendmsg(MSG_INTERRUPT)
	s_mov_b32 m0, ttmp2
.LBB2_1545:                             ; =>This Inner Loop Header: Depth=1
	s_sethalt 5
	s_branch .LBB2_1545
.LBB2_1546:
	s_trap 2
	s_sendmsg_rtn_b32 s0, sendmsg(MSG_RTN_GET_DOORBELL)
	s_mov_b32 ttmp2, m0
	s_waitcnt lgkmcnt(0)
	s_and_b32 s0, s0, 0x3ff
	s_delay_alu instid0(SALU_CYCLE_1) | instskip(NEXT) | instid1(SALU_CYCLE_1)
	s_bitset1_b32 s0, 10
	s_mov_b32 m0, s0
	s_sendmsg sendmsg(MSG_INTERRUPT)
	s_mov_b32 m0, ttmp2
.LBB2_1547:                             ; =>This Inner Loop Header: Depth=1
	s_sethalt 5
	s_branch .LBB2_1547
.LBB2_1548:
	s_trap 2
	s_sendmsg_rtn_b32 s0, sendmsg(MSG_RTN_GET_DOORBELL)
	s_mov_b32 ttmp2, m0
	s_waitcnt lgkmcnt(0)
	s_and_b32 s0, s0, 0x3ff
	s_delay_alu instid0(SALU_CYCLE_1) | instskip(NEXT) | instid1(SALU_CYCLE_1)
	s_bitset1_b32 s0, 10
	s_mov_b32 m0, s0
	s_sendmsg sendmsg(MSG_INTERRUPT)
	s_mov_b32 m0, ttmp2
.LBB2_1549:                             ; =>This Inner Loop Header: Depth=1
	s_sethalt 5
	s_branch .LBB2_1549
.LBB2_1550:
	s_trap 2
	s_sendmsg_rtn_b32 s0, sendmsg(MSG_RTN_GET_DOORBELL)
	s_mov_b32 ttmp2, m0
	s_waitcnt lgkmcnt(0)
	s_and_b32 s0, s0, 0x3ff
	s_delay_alu instid0(SALU_CYCLE_1) | instskip(NEXT) | instid1(SALU_CYCLE_1)
	s_bitset1_b32 s0, 10
	s_mov_b32 m0, s0
	s_sendmsg sendmsg(MSG_INTERRUPT)
	s_mov_b32 m0, ttmp2
.LBB2_1551:                             ; =>This Inner Loop Header: Depth=1
	s_sethalt 5
	s_branch .LBB2_1551
.LBB2_1552:
	s_trap 2
	s_sendmsg_rtn_b32 s0, sendmsg(MSG_RTN_GET_DOORBELL)
	s_mov_b32 ttmp2, m0
	s_waitcnt lgkmcnt(0)
	s_and_b32 s0, s0, 0x3ff
	s_delay_alu instid0(SALU_CYCLE_1) | instskip(NEXT) | instid1(SALU_CYCLE_1)
	s_bitset1_b32 s0, 10
	s_mov_b32 m0, s0
	s_sendmsg sendmsg(MSG_INTERRUPT)
	s_mov_b32 m0, ttmp2
.LBB2_1553:                             ; =>This Inner Loop Header: Depth=1
	s_sethalt 5
	s_branch .LBB2_1553
.LBB2_1554:
	s_trap 2
	s_sendmsg_rtn_b32 s0, sendmsg(MSG_RTN_GET_DOORBELL)
	s_mov_b32 ttmp2, m0
	s_waitcnt lgkmcnt(0)
	s_and_b32 s0, s0, 0x3ff
	s_delay_alu instid0(SALU_CYCLE_1) | instskip(NEXT) | instid1(SALU_CYCLE_1)
	s_bitset1_b32 s0, 10
	s_mov_b32 m0, s0
	s_sendmsg sendmsg(MSG_INTERRUPT)
	s_mov_b32 m0, ttmp2
.LBB2_1555:                             ; =>This Inner Loop Header: Depth=1
	s_sethalt 5
	s_branch .LBB2_1555
.LBB2_1556:
	s_trap 2
	s_sendmsg_rtn_b32 s0, sendmsg(MSG_RTN_GET_DOORBELL)
	s_mov_b32 ttmp2, m0
	s_waitcnt lgkmcnt(0)
	s_and_b32 s0, s0, 0x3ff
	s_delay_alu instid0(SALU_CYCLE_1) | instskip(NEXT) | instid1(SALU_CYCLE_1)
	s_bitset1_b32 s0, 10
	s_mov_b32 m0, s0
	s_sendmsg sendmsg(MSG_INTERRUPT)
	s_mov_b32 m0, ttmp2
.LBB2_1557:                             ; =>This Inner Loop Header: Depth=1
	s_sethalt 5
	s_branch .LBB2_1557
.LBB2_1558:
	s_trap 2
	s_sendmsg_rtn_b32 s0, sendmsg(MSG_RTN_GET_DOORBELL)
	s_mov_b32 ttmp2, m0
	s_waitcnt lgkmcnt(0)
	s_and_b32 s0, s0, 0x3ff
	s_delay_alu instid0(SALU_CYCLE_1) | instskip(NEXT) | instid1(SALU_CYCLE_1)
	s_bitset1_b32 s0, 10
	s_mov_b32 m0, s0
	s_sendmsg sendmsg(MSG_INTERRUPT)
	s_mov_b32 m0, ttmp2
.LBB2_1559:                             ; =>This Inner Loop Header: Depth=1
	s_sethalt 5
	s_branch .LBB2_1559
.LBB2_1560:
	s_trap 2
	s_sendmsg_rtn_b32 s0, sendmsg(MSG_RTN_GET_DOORBELL)
	s_mov_b32 ttmp2, m0
	s_waitcnt lgkmcnt(0)
	s_and_b32 s0, s0, 0x3ff
	s_delay_alu instid0(SALU_CYCLE_1) | instskip(NEXT) | instid1(SALU_CYCLE_1)
	s_bitset1_b32 s0, 10
	s_mov_b32 m0, s0
	s_sendmsg sendmsg(MSG_INTERRUPT)
	s_mov_b32 m0, ttmp2
.LBB2_1561:                             ; =>This Inner Loop Header: Depth=1
	s_sethalt 5
	s_branch .LBB2_1561
.LBB2_1562:
	s_trap 2
	s_sendmsg_rtn_b32 s0, sendmsg(MSG_RTN_GET_DOORBELL)
	s_mov_b32 ttmp2, m0
	s_waitcnt lgkmcnt(0)
	s_and_b32 s0, s0, 0x3ff
	s_delay_alu instid0(SALU_CYCLE_1) | instskip(NEXT) | instid1(SALU_CYCLE_1)
	s_bitset1_b32 s0, 10
	s_mov_b32 m0, s0
	s_sendmsg sendmsg(MSG_INTERRUPT)
	s_mov_b32 m0, ttmp2
.LBB2_1563:                             ; =>This Inner Loop Header: Depth=1
	s_sethalt 5
	s_branch .LBB2_1563
.LBB2_1564:
	s_trap 2
	s_sendmsg_rtn_b32 s0, sendmsg(MSG_RTN_GET_DOORBELL)
	s_mov_b32 ttmp2, m0
	s_waitcnt lgkmcnt(0)
	s_and_b32 s0, s0, 0x3ff
	s_delay_alu instid0(SALU_CYCLE_1) | instskip(NEXT) | instid1(SALU_CYCLE_1)
	s_bitset1_b32 s0, 10
	s_mov_b32 m0, s0
	s_sendmsg sendmsg(MSG_INTERRUPT)
	s_mov_b32 m0, ttmp2
.LBB2_1565:                             ; =>This Inner Loop Header: Depth=1
	s_sethalt 5
	s_branch .LBB2_1565
.LBB2_1566:
	s_trap 2
	s_sendmsg_rtn_b32 s0, sendmsg(MSG_RTN_GET_DOORBELL)
	s_mov_b32 ttmp2, m0
	s_waitcnt lgkmcnt(0)
	s_and_b32 s0, s0, 0x3ff
	s_delay_alu instid0(SALU_CYCLE_1) | instskip(NEXT) | instid1(SALU_CYCLE_1)
	s_bitset1_b32 s0, 10
	s_mov_b32 m0, s0
	s_sendmsg sendmsg(MSG_INTERRUPT)
	s_mov_b32 m0, ttmp2
.LBB2_1567:                             ; =>This Inner Loop Header: Depth=1
	s_sethalt 5
	s_branch .LBB2_1567
.LBB2_1568:
	s_trap 2
	s_sendmsg_rtn_b32 s0, sendmsg(MSG_RTN_GET_DOORBELL)
	s_mov_b32 ttmp2, m0
	s_waitcnt lgkmcnt(0)
	s_and_b32 s0, s0, 0x3ff
	s_delay_alu instid0(SALU_CYCLE_1) | instskip(NEXT) | instid1(SALU_CYCLE_1)
	s_bitset1_b32 s0, 10
	s_mov_b32 m0, s0
	s_sendmsg sendmsg(MSG_INTERRUPT)
	s_mov_b32 m0, ttmp2
.LBB2_1569:                             ; =>This Inner Loop Header: Depth=1
	s_sethalt 5
	s_branch .LBB2_1569
.LBB2_1570:
	s_trap 2
	s_sendmsg_rtn_b32 s0, sendmsg(MSG_RTN_GET_DOORBELL)
	s_mov_b32 ttmp2, m0
	s_waitcnt lgkmcnt(0)
	s_and_b32 s0, s0, 0x3ff
	s_delay_alu instid0(SALU_CYCLE_1) | instskip(NEXT) | instid1(SALU_CYCLE_1)
	s_bitset1_b32 s0, 10
	s_mov_b32 m0, s0
	s_sendmsg sendmsg(MSG_INTERRUPT)
	s_mov_b32 m0, ttmp2
.LBB2_1571:                             ; =>This Inner Loop Header: Depth=1
	s_sethalt 5
	s_branch .LBB2_1571
.LBB2_1572:
	s_trap 2
	s_sendmsg_rtn_b32 s0, sendmsg(MSG_RTN_GET_DOORBELL)
	s_mov_b32 ttmp2, m0
	s_waitcnt lgkmcnt(0)
	s_and_b32 s0, s0, 0x3ff
	s_delay_alu instid0(SALU_CYCLE_1) | instskip(NEXT) | instid1(SALU_CYCLE_1)
	s_bitset1_b32 s0, 10
	s_mov_b32 m0, s0
	s_sendmsg sendmsg(MSG_INTERRUPT)
	s_mov_b32 m0, ttmp2
.LBB2_1573:                             ; =>This Inner Loop Header: Depth=1
	s_sethalt 5
	s_branch .LBB2_1573
.LBB2_1574:
	s_trap 2
	s_sendmsg_rtn_b32 s0, sendmsg(MSG_RTN_GET_DOORBELL)
	s_mov_b32 ttmp2, m0
	s_waitcnt lgkmcnt(0)
	s_and_b32 s0, s0, 0x3ff
	s_delay_alu instid0(SALU_CYCLE_1) | instskip(NEXT) | instid1(SALU_CYCLE_1)
	s_bitset1_b32 s0, 10
	s_mov_b32 m0, s0
	s_sendmsg sendmsg(MSG_INTERRUPT)
	s_mov_b32 m0, ttmp2
.LBB2_1575:                             ; =>This Inner Loop Header: Depth=1
	s_sethalt 5
	s_branch .LBB2_1575
.LBB2_1576:
	s_trap 2
	s_sendmsg_rtn_b32 s0, sendmsg(MSG_RTN_GET_DOORBELL)
	s_mov_b32 ttmp2, m0
	s_waitcnt lgkmcnt(0)
	s_and_b32 s0, s0, 0x3ff
	s_delay_alu instid0(SALU_CYCLE_1) | instskip(NEXT) | instid1(SALU_CYCLE_1)
	s_bitset1_b32 s0, 10
	s_mov_b32 m0, s0
	s_sendmsg sendmsg(MSG_INTERRUPT)
	s_mov_b32 m0, ttmp2
.LBB2_1577:                             ; =>This Inner Loop Header: Depth=1
	s_sethalt 5
	s_branch .LBB2_1577
.LBB2_1578:
	s_trap 2
	s_sendmsg_rtn_b32 s0, sendmsg(MSG_RTN_GET_DOORBELL)
	s_mov_b32 ttmp2, m0
	s_waitcnt lgkmcnt(0)
	s_and_b32 s0, s0, 0x3ff
	s_delay_alu instid0(SALU_CYCLE_1) | instskip(NEXT) | instid1(SALU_CYCLE_1)
	s_bitset1_b32 s0, 10
	s_mov_b32 m0, s0
	s_sendmsg sendmsg(MSG_INTERRUPT)
	s_mov_b32 m0, ttmp2
.LBB2_1579:                             ; =>This Inner Loop Header: Depth=1
	s_sethalt 5
	s_branch .LBB2_1579
.LBB2_1580:
	s_trap 2
	s_sendmsg_rtn_b32 s0, sendmsg(MSG_RTN_GET_DOORBELL)
	s_mov_b32 ttmp2, m0
	s_waitcnt lgkmcnt(0)
	s_and_b32 s0, s0, 0x3ff
	s_delay_alu instid0(SALU_CYCLE_1) | instskip(NEXT) | instid1(SALU_CYCLE_1)
	s_bitset1_b32 s0, 10
	s_mov_b32 m0, s0
	s_sendmsg sendmsg(MSG_INTERRUPT)
	s_mov_b32 m0, ttmp2
.LBB2_1581:                             ; =>This Inner Loop Header: Depth=1
	s_sethalt 5
	s_branch .LBB2_1581
.LBB2_1582:
	s_trap 2
	s_sendmsg_rtn_b32 s0, sendmsg(MSG_RTN_GET_DOORBELL)
	s_mov_b32 ttmp2, m0
	s_waitcnt lgkmcnt(0)
	s_and_b32 s0, s0, 0x3ff
	s_delay_alu instid0(SALU_CYCLE_1) | instskip(NEXT) | instid1(SALU_CYCLE_1)
	s_bitset1_b32 s0, 10
	s_mov_b32 m0, s0
	s_sendmsg sendmsg(MSG_INTERRUPT)
	s_mov_b32 m0, ttmp2
.LBB2_1583:                             ; =>This Inner Loop Header: Depth=1
	s_sethalt 5
	s_branch .LBB2_1583
.LBB2_1584:
	s_trap 2
	s_sendmsg_rtn_b32 s0, sendmsg(MSG_RTN_GET_DOORBELL)
	s_mov_b32 ttmp2, m0
	s_waitcnt lgkmcnt(0)
	s_and_b32 s0, s0, 0x3ff
	s_delay_alu instid0(SALU_CYCLE_1) | instskip(NEXT) | instid1(SALU_CYCLE_1)
	s_bitset1_b32 s0, 10
	s_mov_b32 m0, s0
	s_sendmsg sendmsg(MSG_INTERRUPT)
	s_mov_b32 m0, ttmp2
.LBB2_1585:                             ; =>This Inner Loop Header: Depth=1
	s_sethalt 5
	s_branch .LBB2_1585
.LBB2_1586:
	s_trap 2
	s_sendmsg_rtn_b32 s0, sendmsg(MSG_RTN_GET_DOORBELL)
	s_mov_b32 ttmp2, m0
	s_waitcnt lgkmcnt(0)
	s_and_b32 s0, s0, 0x3ff
	s_delay_alu instid0(SALU_CYCLE_1) | instskip(NEXT) | instid1(SALU_CYCLE_1)
	s_bitset1_b32 s0, 10
	s_mov_b32 m0, s0
	s_sendmsg sendmsg(MSG_INTERRUPT)
	s_mov_b32 m0, ttmp2
.LBB2_1587:                             ; =>This Inner Loop Header: Depth=1
	s_sethalt 5
	s_branch .LBB2_1587
.LBB2_1588:
	s_trap 2
	s_sendmsg_rtn_b32 s0, sendmsg(MSG_RTN_GET_DOORBELL)
	s_mov_b32 ttmp2, m0
	s_waitcnt lgkmcnt(0)
	s_and_b32 s0, s0, 0x3ff
	s_delay_alu instid0(SALU_CYCLE_1) | instskip(NEXT) | instid1(SALU_CYCLE_1)
	s_bitset1_b32 s0, 10
	s_mov_b32 m0, s0
	s_sendmsg sendmsg(MSG_INTERRUPT)
	s_mov_b32 m0, ttmp2
.LBB2_1589:                             ; =>This Inner Loop Header: Depth=1
	s_sethalt 5
	s_branch .LBB2_1589
.LBB2_1590:
	s_trap 2
	s_sendmsg_rtn_b32 s0, sendmsg(MSG_RTN_GET_DOORBELL)
	s_mov_b32 ttmp2, m0
	s_waitcnt lgkmcnt(0)
	s_and_b32 s0, s0, 0x3ff
	s_delay_alu instid0(SALU_CYCLE_1) | instskip(NEXT) | instid1(SALU_CYCLE_1)
	s_bitset1_b32 s0, 10
	s_mov_b32 m0, s0
	s_sendmsg sendmsg(MSG_INTERRUPT)
	s_mov_b32 m0, ttmp2
.LBB2_1591:                             ; =>This Inner Loop Header: Depth=1
	s_sethalt 5
	s_branch .LBB2_1591
.LBB2_1592:
	s_trap 2
	s_sendmsg_rtn_b32 s0, sendmsg(MSG_RTN_GET_DOORBELL)
	s_mov_b32 ttmp2, m0
	s_waitcnt lgkmcnt(0)
	s_and_b32 s0, s0, 0x3ff
	s_delay_alu instid0(SALU_CYCLE_1) | instskip(NEXT) | instid1(SALU_CYCLE_1)
	s_bitset1_b32 s0, 10
	s_mov_b32 m0, s0
	s_sendmsg sendmsg(MSG_INTERRUPT)
	s_mov_b32 m0, ttmp2
.LBB2_1593:                             ; =>This Inner Loop Header: Depth=1
	s_sethalt 5
	s_branch .LBB2_1593
.LBB2_1594:
	s_trap 2
	s_sendmsg_rtn_b32 s0, sendmsg(MSG_RTN_GET_DOORBELL)
	s_mov_b32 ttmp2, m0
	s_waitcnt lgkmcnt(0)
	s_and_b32 s0, s0, 0x3ff
	s_delay_alu instid0(SALU_CYCLE_1) | instskip(NEXT) | instid1(SALU_CYCLE_1)
	s_bitset1_b32 s0, 10
	s_mov_b32 m0, s0
	s_sendmsg sendmsg(MSG_INTERRUPT)
	s_mov_b32 m0, ttmp2
.LBB2_1595:                             ; =>This Inner Loop Header: Depth=1
	s_sethalt 5
	s_branch .LBB2_1595
.LBB2_1596:
	s_trap 2
	s_sendmsg_rtn_b32 s0, sendmsg(MSG_RTN_GET_DOORBELL)
	s_mov_b32 ttmp2, m0
	s_waitcnt lgkmcnt(0)
	s_and_b32 s0, s0, 0x3ff
	s_delay_alu instid0(SALU_CYCLE_1) | instskip(NEXT) | instid1(SALU_CYCLE_1)
	s_bitset1_b32 s0, 10
	s_mov_b32 m0, s0
	s_sendmsg sendmsg(MSG_INTERRUPT)
	s_mov_b32 m0, ttmp2
.LBB2_1597:                             ; =>This Inner Loop Header: Depth=1
	s_sethalt 5
	s_branch .LBB2_1597
.LBB2_1598:
	s_trap 2
	s_sendmsg_rtn_b32 s0, sendmsg(MSG_RTN_GET_DOORBELL)
	s_mov_b32 ttmp2, m0
	s_waitcnt lgkmcnt(0)
	s_and_b32 s0, s0, 0x3ff
	s_delay_alu instid0(SALU_CYCLE_1) | instskip(NEXT) | instid1(SALU_CYCLE_1)
	s_bitset1_b32 s0, 10
	s_mov_b32 m0, s0
	s_sendmsg sendmsg(MSG_INTERRUPT)
	s_mov_b32 m0, ttmp2
.LBB2_1599:                             ; =>This Inner Loop Header: Depth=1
	s_sethalt 5
	s_branch .LBB2_1599
.LBB2_1600:
	s_trap 2
	s_sendmsg_rtn_b32 s0, sendmsg(MSG_RTN_GET_DOORBELL)
	s_mov_b32 ttmp2, m0
	s_waitcnt lgkmcnt(0)
	s_and_b32 s0, s0, 0x3ff
	s_delay_alu instid0(SALU_CYCLE_1) | instskip(NEXT) | instid1(SALU_CYCLE_1)
	s_bitset1_b32 s0, 10
	s_mov_b32 m0, s0
	s_sendmsg sendmsg(MSG_INTERRUPT)
	s_mov_b32 m0, ttmp2
.LBB2_1601:                             ; =>This Inner Loop Header: Depth=1
	s_sethalt 5
	s_branch .LBB2_1601
.LBB2_1602:
	s_trap 2
	s_sendmsg_rtn_b32 s0, sendmsg(MSG_RTN_GET_DOORBELL)
	s_mov_b32 ttmp2, m0
	s_waitcnt lgkmcnt(0)
	s_and_b32 s0, s0, 0x3ff
	s_delay_alu instid0(SALU_CYCLE_1) | instskip(NEXT) | instid1(SALU_CYCLE_1)
	s_bitset1_b32 s0, 10
	s_mov_b32 m0, s0
	s_sendmsg sendmsg(MSG_INTERRUPT)
	s_mov_b32 m0, ttmp2
.LBB2_1603:                             ; =>This Inner Loop Header: Depth=1
	s_sethalt 5
	s_branch .LBB2_1603
.LBB2_1604:
	s_trap 2
	s_sendmsg_rtn_b32 s0, sendmsg(MSG_RTN_GET_DOORBELL)
	s_mov_b32 ttmp2, m0
	s_waitcnt lgkmcnt(0)
	s_and_b32 s0, s0, 0x3ff
	s_delay_alu instid0(SALU_CYCLE_1) | instskip(NEXT) | instid1(SALU_CYCLE_1)
	s_bitset1_b32 s0, 10
	s_mov_b32 m0, s0
	s_sendmsg sendmsg(MSG_INTERRUPT)
	s_mov_b32 m0, ttmp2
.LBB2_1605:                             ; =>This Inner Loop Header: Depth=1
	s_sethalt 5
	s_branch .LBB2_1605
.LBB2_1606:
	s_trap 2
	s_sendmsg_rtn_b32 s0, sendmsg(MSG_RTN_GET_DOORBELL)
	s_mov_b32 ttmp2, m0
	s_waitcnt lgkmcnt(0)
	s_and_b32 s0, s0, 0x3ff
	s_delay_alu instid0(SALU_CYCLE_1) | instskip(NEXT) | instid1(SALU_CYCLE_1)
	s_bitset1_b32 s0, 10
	s_mov_b32 m0, s0
	s_sendmsg sendmsg(MSG_INTERRUPT)
	s_mov_b32 m0, ttmp2
.LBB2_1607:                             ; =>This Inner Loop Header: Depth=1
	s_sethalt 5
	s_branch .LBB2_1607
.LBB2_1608:
	s_trap 2
	s_sendmsg_rtn_b32 s0, sendmsg(MSG_RTN_GET_DOORBELL)
	s_mov_b32 ttmp2, m0
	s_waitcnt lgkmcnt(0)
	s_and_b32 s0, s0, 0x3ff
	s_delay_alu instid0(SALU_CYCLE_1) | instskip(NEXT) | instid1(SALU_CYCLE_1)
	s_bitset1_b32 s0, 10
	s_mov_b32 m0, s0
	s_sendmsg sendmsg(MSG_INTERRUPT)
	s_mov_b32 m0, ttmp2
.LBB2_1609:                             ; =>This Inner Loop Header: Depth=1
	s_sethalt 5
	s_branch .LBB2_1609
.LBB2_1610:
	s_trap 2
	s_sendmsg_rtn_b32 s0, sendmsg(MSG_RTN_GET_DOORBELL)
	s_mov_b32 ttmp2, m0
	s_waitcnt lgkmcnt(0)
	s_and_b32 s0, s0, 0x3ff
	s_delay_alu instid0(SALU_CYCLE_1) | instskip(NEXT) | instid1(SALU_CYCLE_1)
	s_bitset1_b32 s0, 10
	s_mov_b32 m0, s0
	s_sendmsg sendmsg(MSG_INTERRUPT)
	s_mov_b32 m0, ttmp2
.LBB2_1611:                             ; =>This Inner Loop Header: Depth=1
	s_sethalt 5
	s_branch .LBB2_1611
.LBB2_1612:
	s_trap 2
	s_sendmsg_rtn_b32 s0, sendmsg(MSG_RTN_GET_DOORBELL)
	s_mov_b32 ttmp2, m0
	s_waitcnt lgkmcnt(0)
	s_and_b32 s0, s0, 0x3ff
	s_delay_alu instid0(SALU_CYCLE_1) | instskip(NEXT) | instid1(SALU_CYCLE_1)
	s_bitset1_b32 s0, 10
	s_mov_b32 m0, s0
	s_sendmsg sendmsg(MSG_INTERRUPT)
	s_mov_b32 m0, ttmp2
.LBB2_1613:                             ; =>This Inner Loop Header: Depth=1
	s_sethalt 5
	s_branch .LBB2_1613
.LBB2_1614:
	s_trap 2
	s_sendmsg_rtn_b32 s0, sendmsg(MSG_RTN_GET_DOORBELL)
	s_mov_b32 ttmp2, m0
	s_waitcnt lgkmcnt(0)
	s_and_b32 s0, s0, 0x3ff
	s_delay_alu instid0(SALU_CYCLE_1) | instskip(NEXT) | instid1(SALU_CYCLE_1)
	s_bitset1_b32 s0, 10
	s_mov_b32 m0, s0
	s_sendmsg sendmsg(MSG_INTERRUPT)
	s_mov_b32 m0, ttmp2
.LBB2_1615:                             ; =>This Inner Loop Header: Depth=1
	s_sethalt 5
	s_branch .LBB2_1615
.LBB2_1616:
	s_trap 2
	s_sendmsg_rtn_b32 s0, sendmsg(MSG_RTN_GET_DOORBELL)
	s_mov_b32 ttmp2, m0
	s_waitcnt lgkmcnt(0)
	s_and_b32 s0, s0, 0x3ff
	s_delay_alu instid0(SALU_CYCLE_1) | instskip(NEXT) | instid1(SALU_CYCLE_1)
	s_bitset1_b32 s0, 10
	s_mov_b32 m0, s0
	s_sendmsg sendmsg(MSG_INTERRUPT)
	s_mov_b32 m0, ttmp2
.LBB2_1617:                             ; =>This Inner Loop Header: Depth=1
	s_sethalt 5
	s_branch .LBB2_1617
.LBB2_1618:
	s_trap 2
	s_sendmsg_rtn_b32 s0, sendmsg(MSG_RTN_GET_DOORBELL)
	s_mov_b32 ttmp2, m0
	s_waitcnt lgkmcnt(0)
	s_and_b32 s0, s0, 0x3ff
	s_delay_alu instid0(SALU_CYCLE_1) | instskip(NEXT) | instid1(SALU_CYCLE_1)
	s_bitset1_b32 s0, 10
	s_mov_b32 m0, s0
	s_sendmsg sendmsg(MSG_INTERRUPT)
	s_mov_b32 m0, ttmp2
.LBB2_1619:                             ; =>This Inner Loop Header: Depth=1
	s_sethalt 5
	s_branch .LBB2_1619
.LBB2_1620:
	s_trap 2
	s_sendmsg_rtn_b32 s0, sendmsg(MSG_RTN_GET_DOORBELL)
	s_mov_b32 ttmp2, m0
	s_waitcnt lgkmcnt(0)
	s_and_b32 s0, s0, 0x3ff
	s_delay_alu instid0(SALU_CYCLE_1) | instskip(NEXT) | instid1(SALU_CYCLE_1)
	s_bitset1_b32 s0, 10
	s_mov_b32 m0, s0
	s_sendmsg sendmsg(MSG_INTERRUPT)
	s_mov_b32 m0, ttmp2
.LBB2_1621:                             ; =>This Inner Loop Header: Depth=1
	s_sethalt 5
	s_branch .LBB2_1621
.LBB2_1622:
	s_trap 2
	s_sendmsg_rtn_b32 s0, sendmsg(MSG_RTN_GET_DOORBELL)
	s_mov_b32 ttmp2, m0
	s_waitcnt lgkmcnt(0)
	s_and_b32 s0, s0, 0x3ff
	s_delay_alu instid0(SALU_CYCLE_1) | instskip(NEXT) | instid1(SALU_CYCLE_1)
	s_bitset1_b32 s0, 10
	s_mov_b32 m0, s0
	s_sendmsg sendmsg(MSG_INTERRUPT)
	s_mov_b32 m0, ttmp2
.LBB2_1623:                             ; =>This Inner Loop Header: Depth=1
	s_sethalt 5
	s_branch .LBB2_1623
.LBB2_1624:
	s_trap 2
	s_sendmsg_rtn_b32 s0, sendmsg(MSG_RTN_GET_DOORBELL)
	s_mov_b32 ttmp2, m0
	s_waitcnt lgkmcnt(0)
	s_and_b32 s0, s0, 0x3ff
	s_delay_alu instid0(SALU_CYCLE_1) | instskip(NEXT) | instid1(SALU_CYCLE_1)
	s_bitset1_b32 s0, 10
	s_mov_b32 m0, s0
	s_sendmsg sendmsg(MSG_INTERRUPT)
	s_mov_b32 m0, ttmp2
.LBB2_1625:                             ; =>This Inner Loop Header: Depth=1
	s_sethalt 5
	s_branch .LBB2_1625
.LBB2_1626:
	s_trap 2
	s_sendmsg_rtn_b32 s0, sendmsg(MSG_RTN_GET_DOORBELL)
	s_mov_b32 ttmp2, m0
	s_waitcnt lgkmcnt(0)
	s_and_b32 s0, s0, 0x3ff
	s_delay_alu instid0(SALU_CYCLE_1) | instskip(NEXT) | instid1(SALU_CYCLE_1)
	s_bitset1_b32 s0, 10
	s_mov_b32 m0, s0
	s_sendmsg sendmsg(MSG_INTERRUPT)
	s_mov_b32 m0, ttmp2
.LBB2_1627:                             ; =>This Inner Loop Header: Depth=1
	s_sethalt 5
	s_branch .LBB2_1627
.LBB2_1628:
	s_trap 2
	s_sendmsg_rtn_b32 s0, sendmsg(MSG_RTN_GET_DOORBELL)
	s_mov_b32 ttmp2, m0
	s_waitcnt lgkmcnt(0)
	s_and_b32 s0, s0, 0x3ff
	s_delay_alu instid0(SALU_CYCLE_1) | instskip(NEXT) | instid1(SALU_CYCLE_1)
	s_bitset1_b32 s0, 10
	s_mov_b32 m0, s0
	s_sendmsg sendmsg(MSG_INTERRUPT)
	s_mov_b32 m0, ttmp2
.LBB2_1629:                             ; =>This Inner Loop Header: Depth=1
	s_sethalt 5
	s_branch .LBB2_1629
.LBB2_1630:
	s_trap 2
	s_sendmsg_rtn_b32 s0, sendmsg(MSG_RTN_GET_DOORBELL)
	s_mov_b32 ttmp2, m0
	s_waitcnt lgkmcnt(0)
	s_and_b32 s0, s0, 0x3ff
	s_delay_alu instid0(SALU_CYCLE_1) | instskip(NEXT) | instid1(SALU_CYCLE_1)
	s_bitset1_b32 s0, 10
	s_mov_b32 m0, s0
	s_sendmsg sendmsg(MSG_INTERRUPT)
	s_mov_b32 m0, ttmp2
.LBB2_1631:                             ; =>This Inner Loop Header: Depth=1
	s_sethalt 5
	s_branch .LBB2_1631
.LBB2_1632:
	s_trap 2
	s_sendmsg_rtn_b32 s0, sendmsg(MSG_RTN_GET_DOORBELL)
	s_mov_b32 ttmp2, m0
	s_waitcnt lgkmcnt(0)
	s_and_b32 s0, s0, 0x3ff
	s_delay_alu instid0(SALU_CYCLE_1) | instskip(NEXT) | instid1(SALU_CYCLE_1)
	s_bitset1_b32 s0, 10
	s_mov_b32 m0, s0
	s_sendmsg sendmsg(MSG_INTERRUPT)
	s_mov_b32 m0, ttmp2
.LBB2_1633:                             ; =>This Inner Loop Header: Depth=1
	s_sethalt 5
	s_branch .LBB2_1633
.LBB2_1634:
	s_trap 2
	s_sendmsg_rtn_b32 s0, sendmsg(MSG_RTN_GET_DOORBELL)
	s_mov_b32 ttmp2, m0
	s_waitcnt lgkmcnt(0)
	s_and_b32 s0, s0, 0x3ff
	s_delay_alu instid0(SALU_CYCLE_1) | instskip(NEXT) | instid1(SALU_CYCLE_1)
	s_bitset1_b32 s0, 10
	s_mov_b32 m0, s0
	s_sendmsg sendmsg(MSG_INTERRUPT)
	s_mov_b32 m0, ttmp2
.LBB2_1635:                             ; =>This Inner Loop Header: Depth=1
	s_sethalt 5
	s_branch .LBB2_1635
.LBB2_1636:
	s_trap 2
	s_sendmsg_rtn_b32 s0, sendmsg(MSG_RTN_GET_DOORBELL)
	s_mov_b32 ttmp2, m0
	s_waitcnt lgkmcnt(0)
	s_and_b32 s0, s0, 0x3ff
	s_delay_alu instid0(SALU_CYCLE_1) | instskip(NEXT) | instid1(SALU_CYCLE_1)
	s_bitset1_b32 s0, 10
	s_mov_b32 m0, s0
	s_sendmsg sendmsg(MSG_INTERRUPT)
	s_mov_b32 m0, ttmp2
.LBB2_1637:                             ; =>This Inner Loop Header: Depth=1
	s_sethalt 5
	s_branch .LBB2_1637
.LBB2_1638:
	s_trap 2
	s_sendmsg_rtn_b32 s0, sendmsg(MSG_RTN_GET_DOORBELL)
	s_mov_b32 ttmp2, m0
	s_waitcnt lgkmcnt(0)
	s_and_b32 s0, s0, 0x3ff
	s_delay_alu instid0(SALU_CYCLE_1) | instskip(NEXT) | instid1(SALU_CYCLE_1)
	s_bitset1_b32 s0, 10
	s_mov_b32 m0, s0
	s_sendmsg sendmsg(MSG_INTERRUPT)
	s_mov_b32 m0, ttmp2
.LBB2_1639:                             ; =>This Inner Loop Header: Depth=1
	s_sethalt 5
	s_branch .LBB2_1639
.LBB2_1640:
	s_trap 2
	s_sendmsg_rtn_b32 s0, sendmsg(MSG_RTN_GET_DOORBELL)
	s_mov_b32 ttmp2, m0
	s_waitcnt lgkmcnt(0)
	s_and_b32 s0, s0, 0x3ff
	s_delay_alu instid0(SALU_CYCLE_1) | instskip(NEXT) | instid1(SALU_CYCLE_1)
	s_bitset1_b32 s0, 10
	s_mov_b32 m0, s0
	s_sendmsg sendmsg(MSG_INTERRUPT)
	s_mov_b32 m0, ttmp2
.LBB2_1641:                             ; =>This Inner Loop Header: Depth=1
	s_sethalt 5
	s_branch .LBB2_1641
.LBB2_1642:
	s_trap 2
	s_sendmsg_rtn_b32 s0, sendmsg(MSG_RTN_GET_DOORBELL)
	s_mov_b32 ttmp2, m0
	s_waitcnt lgkmcnt(0)
	s_and_b32 s0, s0, 0x3ff
	s_delay_alu instid0(SALU_CYCLE_1) | instskip(NEXT) | instid1(SALU_CYCLE_1)
	s_bitset1_b32 s0, 10
	s_mov_b32 m0, s0
	s_sendmsg sendmsg(MSG_INTERRUPT)
	s_mov_b32 m0, ttmp2
.LBB2_1643:                             ; =>This Inner Loop Header: Depth=1
	s_sethalt 5
	s_branch .LBB2_1643
.LBB2_1644:
	s_trap 2
	s_sendmsg_rtn_b32 s0, sendmsg(MSG_RTN_GET_DOORBELL)
	s_mov_b32 ttmp2, m0
	s_waitcnt lgkmcnt(0)
	s_and_b32 s0, s0, 0x3ff
	s_delay_alu instid0(SALU_CYCLE_1) | instskip(NEXT) | instid1(SALU_CYCLE_1)
	s_bitset1_b32 s0, 10
	s_mov_b32 m0, s0
	s_sendmsg sendmsg(MSG_INTERRUPT)
	s_mov_b32 m0, ttmp2
.LBB2_1645:                             ; =>This Inner Loop Header: Depth=1
	s_sethalt 5
	s_branch .LBB2_1645
.LBB2_1646:
	s_trap 2
	s_sendmsg_rtn_b32 s0, sendmsg(MSG_RTN_GET_DOORBELL)
	s_mov_b32 ttmp2, m0
	s_waitcnt lgkmcnt(0)
	s_and_b32 s0, s0, 0x3ff
	s_delay_alu instid0(SALU_CYCLE_1) | instskip(NEXT) | instid1(SALU_CYCLE_1)
	s_bitset1_b32 s0, 10
	s_mov_b32 m0, s0
	s_sendmsg sendmsg(MSG_INTERRUPT)
	s_mov_b32 m0, ttmp2
.LBB2_1647:                             ; =>This Inner Loop Header: Depth=1
	s_sethalt 5
	s_branch .LBB2_1647
.LBB2_1648:
	s_trap 2
	s_sendmsg_rtn_b32 s0, sendmsg(MSG_RTN_GET_DOORBELL)
	s_mov_b32 ttmp2, m0
	s_waitcnt lgkmcnt(0)
	s_and_b32 s0, s0, 0x3ff
	s_delay_alu instid0(SALU_CYCLE_1) | instskip(NEXT) | instid1(SALU_CYCLE_1)
	s_bitset1_b32 s0, 10
	s_mov_b32 m0, s0
	s_sendmsg sendmsg(MSG_INTERRUPT)
	s_mov_b32 m0, ttmp2
.LBB2_1649:                             ; =>This Inner Loop Header: Depth=1
	s_sethalt 5
	s_branch .LBB2_1649
.LBB2_1650:
	s_or_b32 exec_lo, exec_lo, s4
	s_and_saveexec_b32 s4, s5
	s_delay_alu instid0(SALU_CYCLE_1)
	s_xor_b32 s4, exec_lo, s4
	s_cbranch_execz .LBB2_1652
; %bb.1651:
	v_mov_b32_e32 v0, 1
	ds_store_b32 v0, v0
	s_cbranch_execnz .LBB2_1744
.LBB2_1652:
	s_or_b32 exec_lo, exec_lo, s3
	;;#ASMSTART
	s_wakeup
	;;#ASMEND
.LBB2_1653:
	s_or_b32 exec_lo, exec_lo, s2
.LBB2_1654:
	s_and_not1_saveexec_b32 s1, s1
	s_cbranch_execz .LBB2_1656
; %bb.1655:
	s_waitcnt lgkmcnt(0)
	s_waitcnt_vscnt null, 0x0
	buffer_gl1_inv
	buffer_gl0_inv
	s_barrier
.LBB2_1656:
	s_or_b32 exec_lo, exec_lo, s0
.LBB2_1657:
	s_and_not1_saveexec_b32 s21, s18
	s_cbranch_execz .LBB2_1659
; %bb.1658:
	s_getpc_b64 s[0:1]
	s_add_u32 s0, s0, __PRETTY_FUNCTION__._ZN10PrimitivesIh14FuncSumPostDivIhE12FanSymmetricILi1EELi0E11ProtoSimpleILi2ELi2ELi0ELi1ELi0ELi0EELi0ELb0ELi0ELi0ELi0EEC2EiiPKiS8_PKvPvmhhhP15ncclDevWorkCollP14ncclDevWorkP2pii@rel32@lo+4
	s_addc_u32 s1, s1, __PRETTY_FUNCTION__._ZN10PrimitivesIh14FuncSumPostDivIhE12FanSymmetricILi1EELi0E11ProtoSimpleILi2ELi2ELi0ELi1ELi0ELi0EELi0ELb0ELi0ELi0ELi0EEC2EiiPKiS8_PKvPvmhhhP15ncclDevWorkCollP14ncclDevWorkP2pii@rel32@hi+12
	s_delay_alu instid0(SALU_CYCLE_1) | instskip(SKIP_3) | instid1(SALU_CYCLE_1)
	v_dual_mov_b32 v0, s0 :: v_dual_mov_b32 v1, s1
	s_getpc_b64 s[2:3]
	s_add_u32 s2, s2, __assert_fail@rel32@lo+4
	s_addc_u32 s3, s3, __assert_fail@rel32@hi+12
	s_swappc_b64 s[30:31], s[2:3]
	; divergent unreachable
.LBB2_1659:
	s_or_b32 exec_lo, exec_lo, s21
	s_clause 0x14
	scratch_load_b32 v76, off, s33
	scratch_load_b32 v75, off, s33 offset:4
	scratch_load_b32 v74, off, s33 offset:8
	;; [unrolled: 1-line block ×20, first 2 shown]
	v_readlane_b32 s30, v77, 12
	v_readlane_b32 s31, v77, 13
	;; [unrolled: 1-line block ×15, first 2 shown]
	s_or_saveexec_b32 s1, -1
	s_clause 0x1
	scratch_load_b32 v77, off, s33 offset:84
	scratch_load_b32 v78, off, s33 offset:88
	s_mov_b32 exec_lo, s1
	s_addk_i32 s32, 0xffa0
	s_mov_b32 s33, s0
	s_waitcnt vmcnt(0) lgkmcnt(0)
	s_setpc_b64 s[30:31]
.LBB2_1660:
	s_trap 2
	s_sendmsg_rtn_b32 s0, sendmsg(MSG_RTN_GET_DOORBELL)
	s_mov_b32 ttmp2, m0
	s_waitcnt lgkmcnt(0)
	s_and_b32 s0, s0, 0x3ff
	s_delay_alu instid0(SALU_CYCLE_1) | instskip(NEXT) | instid1(SALU_CYCLE_1)
	s_bitset1_b32 s0, 10
	s_mov_b32 m0, s0
	s_sendmsg sendmsg(MSG_INTERRUPT)
	s_mov_b32 m0, ttmp2
.LBB2_1661:                             ; =>This Inner Loop Header: Depth=1
	s_sethalt 5
	s_branch .LBB2_1661
.LBB2_1662:
	s_trap 2
	s_sendmsg_rtn_b32 s0, sendmsg(MSG_RTN_GET_DOORBELL)
	s_mov_b32 ttmp2, m0
	s_waitcnt lgkmcnt(0)
	s_and_b32 s0, s0, 0x3ff
	s_delay_alu instid0(SALU_CYCLE_1) | instskip(NEXT) | instid1(SALU_CYCLE_1)
	s_bitset1_b32 s0, 10
	s_mov_b32 m0, s0
	s_sendmsg sendmsg(MSG_INTERRUPT)
	s_mov_b32 m0, ttmp2
.LBB2_1663:                             ; =>This Inner Loop Header: Depth=1
	s_sethalt 5
	s_branch .LBB2_1663
.LBB2_1664:
	s_trap 2
	s_sendmsg_rtn_b32 s0, sendmsg(MSG_RTN_GET_DOORBELL)
	s_mov_b32 ttmp2, m0
	s_waitcnt lgkmcnt(0)
	s_and_b32 s0, s0, 0x3ff
	s_delay_alu instid0(SALU_CYCLE_1) | instskip(NEXT) | instid1(SALU_CYCLE_1)
	s_bitset1_b32 s0, 10
	s_mov_b32 m0, s0
	s_sendmsg sendmsg(MSG_INTERRUPT)
	s_mov_b32 m0, ttmp2
.LBB2_1665:                             ; =>This Inner Loop Header: Depth=1
	s_sethalt 5
	s_branch .LBB2_1665
.LBB2_1666:
	s_trap 2
	s_sendmsg_rtn_b32 s0, sendmsg(MSG_RTN_GET_DOORBELL)
	s_mov_b32 ttmp2, m0
	s_waitcnt lgkmcnt(0)
	s_and_b32 s0, s0, 0x3ff
	s_delay_alu instid0(SALU_CYCLE_1) | instskip(NEXT) | instid1(SALU_CYCLE_1)
	s_bitset1_b32 s0, 10
	s_mov_b32 m0, s0
	s_sendmsg sendmsg(MSG_INTERRUPT)
	s_mov_b32 m0, ttmp2
.LBB2_1667:                             ; =>This Inner Loop Header: Depth=1
	s_sethalt 5
	s_branch .LBB2_1667
.LBB2_1668:
	s_trap 2
	s_sendmsg_rtn_b32 s0, sendmsg(MSG_RTN_GET_DOORBELL)
	s_mov_b32 ttmp2, m0
	s_waitcnt lgkmcnt(0)
	s_and_b32 s0, s0, 0x3ff
	s_delay_alu instid0(SALU_CYCLE_1) | instskip(NEXT) | instid1(SALU_CYCLE_1)
	s_bitset1_b32 s0, 10
	s_mov_b32 m0, s0
	s_sendmsg sendmsg(MSG_INTERRUPT)
	s_mov_b32 m0, ttmp2
.LBB2_1669:                             ; =>This Inner Loop Header: Depth=1
	s_sethalt 5
	s_branch .LBB2_1669
.LBB2_1670:
	s_trap 2
	s_sendmsg_rtn_b32 s0, sendmsg(MSG_RTN_GET_DOORBELL)
	s_mov_b32 ttmp2, m0
	s_waitcnt lgkmcnt(0)
	s_and_b32 s0, s0, 0x3ff
	s_delay_alu instid0(SALU_CYCLE_1) | instskip(NEXT) | instid1(SALU_CYCLE_1)
	s_bitset1_b32 s0, 10
	s_mov_b32 m0, s0
	s_sendmsg sendmsg(MSG_INTERRUPT)
	s_mov_b32 m0, ttmp2
.LBB2_1671:                             ; =>This Inner Loop Header: Depth=1
	s_sethalt 5
	s_branch .LBB2_1671
.LBB2_1672:
	s_trap 2
	s_sendmsg_rtn_b32 s0, sendmsg(MSG_RTN_GET_DOORBELL)
	s_mov_b32 ttmp2, m0
	s_waitcnt lgkmcnt(0)
	s_and_b32 s0, s0, 0x3ff
	s_delay_alu instid0(SALU_CYCLE_1) | instskip(NEXT) | instid1(SALU_CYCLE_1)
	s_bitset1_b32 s0, 10
	s_mov_b32 m0, s0
	s_sendmsg sendmsg(MSG_INTERRUPT)
	s_mov_b32 m0, ttmp2
.LBB2_1673:                             ; =>This Inner Loop Header: Depth=1
	s_sethalt 5
	s_branch .LBB2_1673
.LBB2_1674:
	s_trap 2
	s_sendmsg_rtn_b32 s0, sendmsg(MSG_RTN_GET_DOORBELL)
	s_mov_b32 ttmp2, m0
	s_waitcnt lgkmcnt(0)
	s_and_b32 s0, s0, 0x3ff
	s_delay_alu instid0(SALU_CYCLE_1) | instskip(NEXT) | instid1(SALU_CYCLE_1)
	s_bitset1_b32 s0, 10
	s_mov_b32 m0, s0
	s_sendmsg sendmsg(MSG_INTERRUPT)
	s_mov_b32 m0, ttmp2
.LBB2_1675:                             ; =>This Inner Loop Header: Depth=1
	s_sethalt 5
	s_branch .LBB2_1675
.LBB2_1676:
	s_trap 2
	s_sendmsg_rtn_b32 s0, sendmsg(MSG_RTN_GET_DOORBELL)
	s_mov_b32 ttmp2, m0
	s_waitcnt lgkmcnt(0)
	s_and_b32 s0, s0, 0x3ff
	s_delay_alu instid0(SALU_CYCLE_1) | instskip(NEXT) | instid1(SALU_CYCLE_1)
	s_bitset1_b32 s0, 10
	s_mov_b32 m0, s0
	s_sendmsg sendmsg(MSG_INTERRUPT)
	s_mov_b32 m0, ttmp2
.LBB2_1677:                             ; =>This Inner Loop Header: Depth=1
	s_sethalt 5
	s_branch .LBB2_1677
.LBB2_1678:
	s_trap 2
	s_sendmsg_rtn_b32 s0, sendmsg(MSG_RTN_GET_DOORBELL)
	s_mov_b32 ttmp2, m0
	s_waitcnt lgkmcnt(0)
	s_and_b32 s0, s0, 0x3ff
	s_delay_alu instid0(SALU_CYCLE_1) | instskip(NEXT) | instid1(SALU_CYCLE_1)
	s_bitset1_b32 s0, 10
	s_mov_b32 m0, s0
	s_sendmsg sendmsg(MSG_INTERRUPT)
	s_mov_b32 m0, ttmp2
.LBB2_1679:                             ; =>This Inner Loop Header: Depth=1
	s_sethalt 5
	s_branch .LBB2_1679
.LBB2_1680:
	s_trap 2
	s_sendmsg_rtn_b32 s0, sendmsg(MSG_RTN_GET_DOORBELL)
	s_mov_b32 ttmp2, m0
	s_waitcnt lgkmcnt(0)
	s_and_b32 s0, s0, 0x3ff
	s_delay_alu instid0(SALU_CYCLE_1) | instskip(NEXT) | instid1(SALU_CYCLE_1)
	s_bitset1_b32 s0, 10
	s_mov_b32 m0, s0
	s_sendmsg sendmsg(MSG_INTERRUPT)
	s_mov_b32 m0, ttmp2
.LBB2_1681:                             ; =>This Inner Loop Header: Depth=1
	s_sethalt 5
	s_branch .LBB2_1681
.LBB2_1682:
	s_trap 2
	s_sendmsg_rtn_b32 s0, sendmsg(MSG_RTN_GET_DOORBELL)
	s_mov_b32 ttmp2, m0
	s_waitcnt lgkmcnt(0)
	s_and_b32 s0, s0, 0x3ff
	s_delay_alu instid0(SALU_CYCLE_1) | instskip(NEXT) | instid1(SALU_CYCLE_1)
	s_bitset1_b32 s0, 10
	s_mov_b32 m0, s0
	s_sendmsg sendmsg(MSG_INTERRUPT)
	s_mov_b32 m0, ttmp2
.LBB2_1683:                             ; =>This Inner Loop Header: Depth=1
	s_sethalt 5
	s_branch .LBB2_1683
.LBB2_1684:
	s_trap 2
	s_sendmsg_rtn_b32 s0, sendmsg(MSG_RTN_GET_DOORBELL)
	s_mov_b32 ttmp2, m0
	s_waitcnt lgkmcnt(0)
	s_and_b32 s0, s0, 0x3ff
	s_delay_alu instid0(SALU_CYCLE_1) | instskip(NEXT) | instid1(SALU_CYCLE_1)
	s_bitset1_b32 s0, 10
	s_mov_b32 m0, s0
	s_sendmsg sendmsg(MSG_INTERRUPT)
	s_mov_b32 m0, ttmp2
.LBB2_1685:                             ; =>This Inner Loop Header: Depth=1
	s_sethalt 5
	s_branch .LBB2_1685
.LBB2_1686:
	s_trap 2
	s_sendmsg_rtn_b32 s0, sendmsg(MSG_RTN_GET_DOORBELL)
	s_mov_b32 ttmp2, m0
	s_waitcnt lgkmcnt(0)
	s_and_b32 s0, s0, 0x3ff
	s_delay_alu instid0(SALU_CYCLE_1) | instskip(NEXT) | instid1(SALU_CYCLE_1)
	s_bitset1_b32 s0, 10
	s_mov_b32 m0, s0
	s_sendmsg sendmsg(MSG_INTERRUPT)
	s_mov_b32 m0, ttmp2
.LBB2_1687:                             ; =>This Inner Loop Header: Depth=1
	s_sethalt 5
	s_branch .LBB2_1687
.LBB2_1688:
	s_trap 2
	s_sendmsg_rtn_b32 s0, sendmsg(MSG_RTN_GET_DOORBELL)
	s_mov_b32 ttmp2, m0
	s_waitcnt lgkmcnt(0)
	s_and_b32 s0, s0, 0x3ff
	s_delay_alu instid0(SALU_CYCLE_1) | instskip(NEXT) | instid1(SALU_CYCLE_1)
	s_bitset1_b32 s0, 10
	s_mov_b32 m0, s0
	s_sendmsg sendmsg(MSG_INTERRUPT)
	s_mov_b32 m0, ttmp2
.LBB2_1689:                             ; =>This Inner Loop Header: Depth=1
	s_sethalt 5
	s_branch .LBB2_1689
.LBB2_1690:
	s_trap 2
	s_sendmsg_rtn_b32 s0, sendmsg(MSG_RTN_GET_DOORBELL)
	s_mov_b32 ttmp2, m0
	s_waitcnt lgkmcnt(0)
	s_and_b32 s0, s0, 0x3ff
	s_delay_alu instid0(SALU_CYCLE_1) | instskip(NEXT) | instid1(SALU_CYCLE_1)
	s_bitset1_b32 s0, 10
	s_mov_b32 m0, s0
	s_sendmsg sendmsg(MSG_INTERRUPT)
	s_mov_b32 m0, ttmp2
.LBB2_1691:                             ; =>This Inner Loop Header: Depth=1
	s_sethalt 5
	s_branch .LBB2_1691
.LBB2_1692:
	s_trap 2
	s_sendmsg_rtn_b32 s0, sendmsg(MSG_RTN_GET_DOORBELL)
	s_mov_b32 ttmp2, m0
	s_waitcnt lgkmcnt(0)
	s_and_b32 s0, s0, 0x3ff
	s_delay_alu instid0(SALU_CYCLE_1) | instskip(NEXT) | instid1(SALU_CYCLE_1)
	s_bitset1_b32 s0, 10
	s_mov_b32 m0, s0
	s_sendmsg sendmsg(MSG_INTERRUPT)
	s_mov_b32 m0, ttmp2
.LBB2_1693:                             ; =>This Inner Loop Header: Depth=1
	s_sethalt 5
	s_branch .LBB2_1693
.LBB2_1694:
	s_trap 2
	s_sendmsg_rtn_b32 s0, sendmsg(MSG_RTN_GET_DOORBELL)
	s_mov_b32 ttmp2, m0
	s_waitcnt lgkmcnt(0)
	s_and_b32 s0, s0, 0x3ff
	s_delay_alu instid0(SALU_CYCLE_1) | instskip(NEXT) | instid1(SALU_CYCLE_1)
	s_bitset1_b32 s0, 10
	s_mov_b32 m0, s0
	s_sendmsg sendmsg(MSG_INTERRUPT)
	s_mov_b32 m0, ttmp2
.LBB2_1695:                             ; =>This Inner Loop Header: Depth=1
	s_sethalt 5
	s_branch .LBB2_1695
.LBB2_1696:
	s_trap 2
	s_sendmsg_rtn_b32 s0, sendmsg(MSG_RTN_GET_DOORBELL)
	s_mov_b32 ttmp2, m0
	s_waitcnt lgkmcnt(0)
	s_and_b32 s0, s0, 0x3ff
	s_delay_alu instid0(SALU_CYCLE_1) | instskip(NEXT) | instid1(SALU_CYCLE_1)
	s_bitset1_b32 s0, 10
	s_mov_b32 m0, s0
	s_sendmsg sendmsg(MSG_INTERRUPT)
	s_mov_b32 m0, ttmp2
.LBB2_1697:                             ; =>This Inner Loop Header: Depth=1
	s_sethalt 5
	s_branch .LBB2_1697
.LBB2_1698:
	s_trap 2
	s_sendmsg_rtn_b32 s0, sendmsg(MSG_RTN_GET_DOORBELL)
	s_mov_b32 ttmp2, m0
	s_waitcnt lgkmcnt(0)
	s_and_b32 s0, s0, 0x3ff
	s_delay_alu instid0(SALU_CYCLE_1) | instskip(NEXT) | instid1(SALU_CYCLE_1)
	s_bitset1_b32 s0, 10
	s_mov_b32 m0, s0
	s_sendmsg sendmsg(MSG_INTERRUPT)
	s_mov_b32 m0, ttmp2
.LBB2_1699:                             ; =>This Inner Loop Header: Depth=1
	s_sethalt 5
	s_branch .LBB2_1699
.LBB2_1700:
	s_trap 2
	s_sendmsg_rtn_b32 s0, sendmsg(MSG_RTN_GET_DOORBELL)
	s_mov_b32 ttmp2, m0
	s_waitcnt lgkmcnt(0)
	s_and_b32 s0, s0, 0x3ff
	s_delay_alu instid0(SALU_CYCLE_1) | instskip(NEXT) | instid1(SALU_CYCLE_1)
	s_bitset1_b32 s0, 10
	s_mov_b32 m0, s0
	s_sendmsg sendmsg(MSG_INTERRUPT)
	s_mov_b32 m0, ttmp2
.LBB2_1701:                             ; =>This Inner Loop Header: Depth=1
	s_sethalt 5
	s_branch .LBB2_1701
.LBB2_1702:
	s_trap 2
	s_sendmsg_rtn_b32 s0, sendmsg(MSG_RTN_GET_DOORBELL)
	s_mov_b32 ttmp2, m0
	s_waitcnt lgkmcnt(0)
	s_and_b32 s0, s0, 0x3ff
	s_delay_alu instid0(SALU_CYCLE_1) | instskip(NEXT) | instid1(SALU_CYCLE_1)
	s_bitset1_b32 s0, 10
	s_mov_b32 m0, s0
	s_sendmsg sendmsg(MSG_INTERRUPT)
	s_mov_b32 m0, ttmp2
.LBB2_1703:                             ; =>This Inner Loop Header: Depth=1
	s_sethalt 5
	s_branch .LBB2_1703
.LBB2_1704:
	s_trap 2
	s_sendmsg_rtn_b32 s0, sendmsg(MSG_RTN_GET_DOORBELL)
	s_mov_b32 ttmp2, m0
	s_waitcnt lgkmcnt(0)
	s_and_b32 s0, s0, 0x3ff
	s_delay_alu instid0(SALU_CYCLE_1) | instskip(NEXT) | instid1(SALU_CYCLE_1)
	s_bitset1_b32 s0, 10
	s_mov_b32 m0, s0
	s_sendmsg sendmsg(MSG_INTERRUPT)
	s_mov_b32 m0, ttmp2
.LBB2_1705:                             ; =>This Inner Loop Header: Depth=1
	s_sethalt 5
	s_branch .LBB2_1705
.LBB2_1706:
	s_trap 2
	s_sendmsg_rtn_b32 s0, sendmsg(MSG_RTN_GET_DOORBELL)
	s_mov_b32 ttmp2, m0
	s_waitcnt lgkmcnt(0)
	s_and_b32 s0, s0, 0x3ff
	s_delay_alu instid0(SALU_CYCLE_1) | instskip(NEXT) | instid1(SALU_CYCLE_1)
	s_bitset1_b32 s0, 10
	s_mov_b32 m0, s0
	s_sendmsg sendmsg(MSG_INTERRUPT)
	s_mov_b32 m0, ttmp2
.LBB2_1707:                             ; =>This Inner Loop Header: Depth=1
	s_sethalt 5
	s_branch .LBB2_1707
.LBB2_1708:
	s_trap 2
	s_sendmsg_rtn_b32 s0, sendmsg(MSG_RTN_GET_DOORBELL)
	s_mov_b32 ttmp2, m0
	s_waitcnt lgkmcnt(0)
	s_and_b32 s0, s0, 0x3ff
	s_delay_alu instid0(SALU_CYCLE_1) | instskip(NEXT) | instid1(SALU_CYCLE_1)
	s_bitset1_b32 s0, 10
	s_mov_b32 m0, s0
	s_sendmsg sendmsg(MSG_INTERRUPT)
	s_mov_b32 m0, ttmp2
.LBB2_1709:                             ; =>This Inner Loop Header: Depth=1
	s_sethalt 5
	s_branch .LBB2_1709
.LBB2_1710:
	s_trap 2
	s_sendmsg_rtn_b32 s0, sendmsg(MSG_RTN_GET_DOORBELL)
	s_mov_b32 ttmp2, m0
	s_waitcnt lgkmcnt(0)
	s_and_b32 s0, s0, 0x3ff
	s_delay_alu instid0(SALU_CYCLE_1) | instskip(NEXT) | instid1(SALU_CYCLE_1)
	s_bitset1_b32 s0, 10
	s_mov_b32 m0, s0
	s_sendmsg sendmsg(MSG_INTERRUPT)
	s_mov_b32 m0, ttmp2
.LBB2_1711:                             ; =>This Inner Loop Header: Depth=1
	s_sethalt 5
	s_branch .LBB2_1711
.LBB2_1712:
	s_trap 2
	s_sendmsg_rtn_b32 s0, sendmsg(MSG_RTN_GET_DOORBELL)
	s_mov_b32 ttmp2, m0
	s_waitcnt lgkmcnt(0)
	s_and_b32 s0, s0, 0x3ff
	s_delay_alu instid0(SALU_CYCLE_1) | instskip(NEXT) | instid1(SALU_CYCLE_1)
	s_bitset1_b32 s0, 10
	s_mov_b32 m0, s0
	s_sendmsg sendmsg(MSG_INTERRUPT)
	s_mov_b32 m0, ttmp2
.LBB2_1713:                             ; =>This Inner Loop Header: Depth=1
	s_sethalt 5
	s_branch .LBB2_1713
.LBB2_1714:
	s_trap 2
	s_sendmsg_rtn_b32 s0, sendmsg(MSG_RTN_GET_DOORBELL)
	s_mov_b32 ttmp2, m0
	s_waitcnt lgkmcnt(0)
	s_and_b32 s0, s0, 0x3ff
	s_delay_alu instid0(SALU_CYCLE_1) | instskip(NEXT) | instid1(SALU_CYCLE_1)
	s_bitset1_b32 s0, 10
	s_mov_b32 m0, s0
	s_sendmsg sendmsg(MSG_INTERRUPT)
	s_mov_b32 m0, ttmp2
.LBB2_1715:                             ; =>This Inner Loop Header: Depth=1
	s_sethalt 5
	s_branch .LBB2_1715
.LBB2_1716:
	s_trap 2
	s_sendmsg_rtn_b32 s0, sendmsg(MSG_RTN_GET_DOORBELL)
	s_mov_b32 ttmp2, m0
	s_waitcnt lgkmcnt(0)
	s_and_b32 s0, s0, 0x3ff
	s_delay_alu instid0(SALU_CYCLE_1) | instskip(NEXT) | instid1(SALU_CYCLE_1)
	s_bitset1_b32 s0, 10
	s_mov_b32 m0, s0
	s_sendmsg sendmsg(MSG_INTERRUPT)
	s_mov_b32 m0, ttmp2
.LBB2_1717:                             ; =>This Inner Loop Header: Depth=1
	s_sethalt 5
	s_branch .LBB2_1717
.LBB2_1718:
	s_trap 2
	s_sendmsg_rtn_b32 s0, sendmsg(MSG_RTN_GET_DOORBELL)
	s_mov_b32 ttmp2, m0
	s_waitcnt lgkmcnt(0)
	s_and_b32 s0, s0, 0x3ff
	s_delay_alu instid0(SALU_CYCLE_1) | instskip(NEXT) | instid1(SALU_CYCLE_1)
	s_bitset1_b32 s0, 10
	s_mov_b32 m0, s0
	s_sendmsg sendmsg(MSG_INTERRUPT)
	s_mov_b32 m0, ttmp2
.LBB2_1719:                             ; =>This Inner Loop Header: Depth=1
	s_sethalt 5
	s_branch .LBB2_1719
.LBB2_1720:
	s_trap 2
	s_sendmsg_rtn_b32 s0, sendmsg(MSG_RTN_GET_DOORBELL)
	s_mov_b32 ttmp2, m0
	s_waitcnt lgkmcnt(0)
	s_and_b32 s0, s0, 0x3ff
	s_delay_alu instid0(SALU_CYCLE_1) | instskip(NEXT) | instid1(SALU_CYCLE_1)
	s_bitset1_b32 s0, 10
	s_mov_b32 m0, s0
	s_sendmsg sendmsg(MSG_INTERRUPT)
	s_mov_b32 m0, ttmp2
.LBB2_1721:                             ; =>This Inner Loop Header: Depth=1
	s_sethalt 5
	s_branch .LBB2_1721
.LBB2_1722:
	s_trap 2
	s_sendmsg_rtn_b32 s0, sendmsg(MSG_RTN_GET_DOORBELL)
	s_mov_b32 ttmp2, m0
	s_waitcnt lgkmcnt(0)
	s_and_b32 s0, s0, 0x3ff
	s_delay_alu instid0(SALU_CYCLE_1) | instskip(NEXT) | instid1(SALU_CYCLE_1)
	s_bitset1_b32 s0, 10
	s_mov_b32 m0, s0
	s_sendmsg sendmsg(MSG_INTERRUPT)
	s_mov_b32 m0, ttmp2
.LBB2_1723:                             ; =>This Inner Loop Header: Depth=1
	s_sethalt 5
	s_branch .LBB2_1723
.LBB2_1724:
	s_trap 2
	s_sendmsg_rtn_b32 s0, sendmsg(MSG_RTN_GET_DOORBELL)
	s_mov_b32 ttmp2, m0
	s_waitcnt lgkmcnt(0)
	s_and_b32 s0, s0, 0x3ff
	s_delay_alu instid0(SALU_CYCLE_1) | instskip(NEXT) | instid1(SALU_CYCLE_1)
	s_bitset1_b32 s0, 10
	s_mov_b32 m0, s0
	s_sendmsg sendmsg(MSG_INTERRUPT)
	s_mov_b32 m0, ttmp2
.LBB2_1725:                             ; =>This Inner Loop Header: Depth=1
	s_sethalt 5
	s_branch .LBB2_1725
.LBB2_1726:
	s_trap 2
	s_sendmsg_rtn_b32 s0, sendmsg(MSG_RTN_GET_DOORBELL)
	s_mov_b32 ttmp2, m0
	s_waitcnt lgkmcnt(0)
	s_and_b32 s0, s0, 0x3ff
	s_delay_alu instid0(SALU_CYCLE_1) | instskip(NEXT) | instid1(SALU_CYCLE_1)
	s_bitset1_b32 s0, 10
	s_mov_b32 m0, s0
	s_sendmsg sendmsg(MSG_INTERRUPT)
	s_mov_b32 m0, ttmp2
.LBB2_1727:                             ; =>This Inner Loop Header: Depth=1
	s_sethalt 5
	s_branch .LBB2_1727
.LBB2_1728:
	s_trap 2
	s_sendmsg_rtn_b32 s0, sendmsg(MSG_RTN_GET_DOORBELL)
	s_mov_b32 ttmp2, m0
	s_waitcnt lgkmcnt(0)
	s_and_b32 s0, s0, 0x3ff
	s_delay_alu instid0(SALU_CYCLE_1) | instskip(NEXT) | instid1(SALU_CYCLE_1)
	s_bitset1_b32 s0, 10
	s_mov_b32 m0, s0
	s_sendmsg sendmsg(MSG_INTERRUPT)
	s_mov_b32 m0, ttmp2
.LBB2_1729:                             ; =>This Inner Loop Header: Depth=1
	s_sethalt 5
	s_branch .LBB2_1729
.LBB2_1730:
	s_trap 2
	s_sendmsg_rtn_b32 s0, sendmsg(MSG_RTN_GET_DOORBELL)
	s_mov_b32 ttmp2, m0
	s_waitcnt lgkmcnt(0)
	s_and_b32 s0, s0, 0x3ff
	s_delay_alu instid0(SALU_CYCLE_1) | instskip(NEXT) | instid1(SALU_CYCLE_1)
	s_bitset1_b32 s0, 10
	s_mov_b32 m0, s0
	s_sendmsg sendmsg(MSG_INTERRUPT)
	s_mov_b32 m0, ttmp2
.LBB2_1731:                             ; =>This Inner Loop Header: Depth=1
	s_sethalt 5
	s_branch .LBB2_1731
.LBB2_1732:
	s_trap 2
	s_sendmsg_rtn_b32 s0, sendmsg(MSG_RTN_GET_DOORBELL)
	s_mov_b32 ttmp2, m0
	s_waitcnt lgkmcnt(0)
	s_and_b32 s0, s0, 0x3ff
	s_delay_alu instid0(SALU_CYCLE_1) | instskip(NEXT) | instid1(SALU_CYCLE_1)
	s_bitset1_b32 s0, 10
	s_mov_b32 m0, s0
	s_sendmsg sendmsg(MSG_INTERRUPT)
	s_mov_b32 m0, ttmp2
.LBB2_1733:                             ; =>This Inner Loop Header: Depth=1
	s_sethalt 5
	s_branch .LBB2_1733
.LBB2_1734:
	s_trap 2
	s_sendmsg_rtn_b32 s0, sendmsg(MSG_RTN_GET_DOORBELL)
	s_mov_b32 ttmp2, m0
	s_waitcnt lgkmcnt(0)
	s_and_b32 s0, s0, 0x3ff
	s_delay_alu instid0(SALU_CYCLE_1) | instskip(NEXT) | instid1(SALU_CYCLE_1)
	s_bitset1_b32 s0, 10
	s_mov_b32 m0, s0
	s_sendmsg sendmsg(MSG_INTERRUPT)
	s_mov_b32 m0, ttmp2
.LBB2_1735:                             ; =>This Inner Loop Header: Depth=1
	s_sethalt 5
	s_branch .LBB2_1735
.LBB2_1736:
	s_trap 2
	s_sendmsg_rtn_b32 s0, sendmsg(MSG_RTN_GET_DOORBELL)
	s_mov_b32 ttmp2, m0
	s_waitcnt lgkmcnt(0)
	s_and_b32 s0, s0, 0x3ff
	s_delay_alu instid0(SALU_CYCLE_1) | instskip(NEXT) | instid1(SALU_CYCLE_1)
	s_bitset1_b32 s0, 10
	s_mov_b32 m0, s0
	s_sendmsg sendmsg(MSG_INTERRUPT)
	s_mov_b32 m0, ttmp2
.LBB2_1737:                             ; =>This Inner Loop Header: Depth=1
	s_sethalt 5
	s_branch .LBB2_1737
.LBB2_1738:
	s_trap 2
	s_sendmsg_rtn_b32 s0, sendmsg(MSG_RTN_GET_DOORBELL)
	s_mov_b32 ttmp2, m0
	s_waitcnt lgkmcnt(0)
	s_and_b32 s0, s0, 0x3ff
	s_delay_alu instid0(SALU_CYCLE_1) | instskip(NEXT) | instid1(SALU_CYCLE_1)
	s_bitset1_b32 s0, 10
	s_mov_b32 m0, s0
	s_sendmsg sendmsg(MSG_INTERRUPT)
	s_mov_b32 m0, ttmp2
.LBB2_1739:                             ; =>This Inner Loop Header: Depth=1
	s_sethalt 5
	s_branch .LBB2_1739
.LBB2_1740:
	s_trap 2
	s_sendmsg_rtn_b32 s0, sendmsg(MSG_RTN_GET_DOORBELL)
	s_mov_b32 ttmp2, m0
	s_waitcnt lgkmcnt(0)
	s_and_b32 s0, s0, 0x3ff
	s_delay_alu instid0(SALU_CYCLE_1) | instskip(NEXT) | instid1(SALU_CYCLE_1)
	s_bitset1_b32 s0, 10
	s_mov_b32 m0, s0
	s_sendmsg sendmsg(MSG_INTERRUPT)
	s_mov_b32 m0, ttmp2
.LBB2_1741:                             ; =>This Inner Loop Header: Depth=1
	s_sethalt 5
	s_branch .LBB2_1741
.LBB2_1742:
	s_trap 2
	s_sendmsg_rtn_b32 s0, sendmsg(MSG_RTN_GET_DOORBELL)
	s_mov_b32 ttmp2, m0
	s_waitcnt lgkmcnt(0)
	s_and_b32 s0, s0, 0x3ff
	s_delay_alu instid0(SALU_CYCLE_1) | instskip(NEXT) | instid1(SALU_CYCLE_1)
	s_bitset1_b32 s0, 10
	s_mov_b32 m0, s0
	s_sendmsg sendmsg(MSG_INTERRUPT)
	s_mov_b32 m0, ttmp2
.LBB2_1743:                             ; =>This Inner Loop Header: Depth=1
	s_sethalt 5
	s_branch .LBB2_1743
.LBB2_1744:
	s_trap 2
	s_sendmsg_rtn_b32 s0, sendmsg(MSG_RTN_GET_DOORBELL)
	s_mov_b32 ttmp2, m0
	s_waitcnt lgkmcnt(0)
	s_and_b32 s0, s0, 0x3ff
	s_delay_alu instid0(SALU_CYCLE_1) | instskip(NEXT) | instid1(SALU_CYCLE_1)
	s_bitset1_b32 s0, 10
	s_mov_b32 m0, s0
	s_sendmsg sendmsg(MSG_INTERRUPT)
	s_mov_b32 m0, ttmp2
.LBB2_1745:                             ; =>This Inner Loop Header: Depth=1
	s_sethalt 5
	s_branch .LBB2_1745
.LBB2_1746:
	s_trap 2
	s_sendmsg_rtn_b32 s0, sendmsg(MSG_RTN_GET_DOORBELL)
	s_mov_b32 ttmp2, m0
	s_waitcnt lgkmcnt(0)
	s_and_b32 s0, s0, 0x3ff
	s_delay_alu instid0(SALU_CYCLE_1) | instskip(NEXT) | instid1(SALU_CYCLE_1)
	s_bitset1_b32 s0, 10
	s_mov_b32 m0, s0
	s_sendmsg sendmsg(MSG_INTERRUPT)
	s_mov_b32 m0, ttmp2
.LBB2_1747:                             ; =>This Inner Loop Header: Depth=1
	s_sethalt 5
	s_branch .LBB2_1747
.LBB2_1748:
	s_trap 2
	s_sendmsg_rtn_b32 s0, sendmsg(MSG_RTN_GET_DOORBELL)
	s_mov_b32 ttmp2, m0
	s_waitcnt lgkmcnt(0)
	s_and_b32 s0, s0, 0x3ff
	s_delay_alu instid0(SALU_CYCLE_1) | instskip(NEXT) | instid1(SALU_CYCLE_1)
	s_bitset1_b32 s0, 10
	s_mov_b32 m0, s0
	s_sendmsg sendmsg(MSG_INTERRUPT)
	s_mov_b32 m0, ttmp2
.LBB2_1749:                             ; =>This Inner Loop Header: Depth=1
	s_sethalt 5
	s_branch .LBB2_1749
.LBB2_1750:
	s_trap 2
	s_sendmsg_rtn_b32 s0, sendmsg(MSG_RTN_GET_DOORBELL)
	s_mov_b32 ttmp2, m0
	s_waitcnt lgkmcnt(0)
	s_and_b32 s0, s0, 0x3ff
	s_delay_alu instid0(SALU_CYCLE_1) | instskip(NEXT) | instid1(SALU_CYCLE_1)
	s_bitset1_b32 s0, 10
	s_mov_b32 m0, s0
	s_sendmsg sendmsg(MSG_INTERRUPT)
	s_mov_b32 m0, ttmp2
.LBB2_1751:                             ; =>This Inner Loop Header: Depth=1
	s_sethalt 5
	s_branch .LBB2_1751
.LBB2_1752:
	s_trap 2
	s_sendmsg_rtn_b32 s0, sendmsg(MSG_RTN_GET_DOORBELL)
	s_mov_b32 ttmp2, m0
	s_waitcnt lgkmcnt(0)
	s_and_b32 s0, s0, 0x3ff
	s_delay_alu instid0(SALU_CYCLE_1) | instskip(NEXT) | instid1(SALU_CYCLE_1)
	s_bitset1_b32 s0, 10
	s_mov_b32 m0, s0
	s_sendmsg sendmsg(MSG_INTERRUPT)
	s_mov_b32 m0, ttmp2
.LBB2_1753:                             ; =>This Inner Loop Header: Depth=1
	s_sethalt 5
	s_branch .LBB2_1753
.LBB2_1754:
	s_trap 2
	s_sendmsg_rtn_b32 s0, sendmsg(MSG_RTN_GET_DOORBELL)
	s_mov_b32 ttmp2, m0
	s_waitcnt lgkmcnt(0)
	s_and_b32 s0, s0, 0x3ff
	s_delay_alu instid0(SALU_CYCLE_1) | instskip(NEXT) | instid1(SALU_CYCLE_1)
	s_bitset1_b32 s0, 10
	s_mov_b32 m0, s0
	s_sendmsg sendmsg(MSG_INTERRUPT)
	s_mov_b32 m0, ttmp2
.LBB2_1755:                             ; =>This Inner Loop Header: Depth=1
	s_sethalt 5
	s_branch .LBB2_1755
.LBB2_1756:
	s_trap 2
	s_sendmsg_rtn_b32 s0, sendmsg(MSG_RTN_GET_DOORBELL)
	s_mov_b32 ttmp2, m0
	s_waitcnt lgkmcnt(0)
	s_and_b32 s0, s0, 0x3ff
	s_delay_alu instid0(SALU_CYCLE_1) | instskip(NEXT) | instid1(SALU_CYCLE_1)
	s_bitset1_b32 s0, 10
	s_mov_b32 m0, s0
	s_sendmsg sendmsg(MSG_INTERRUPT)
	s_mov_b32 m0, ttmp2
.LBB2_1757:                             ; =>This Inner Loop Header: Depth=1
	s_sethalt 5
	s_branch .LBB2_1757
.LBB2_1758:
	s_trap 2
	s_sendmsg_rtn_b32 s0, sendmsg(MSG_RTN_GET_DOORBELL)
	s_mov_b32 ttmp2, m0
	s_waitcnt lgkmcnt(0)
	s_and_b32 s0, s0, 0x3ff
	s_delay_alu instid0(SALU_CYCLE_1) | instskip(NEXT) | instid1(SALU_CYCLE_1)
	s_bitset1_b32 s0, 10
	s_mov_b32 m0, s0
	s_sendmsg sendmsg(MSG_INTERRUPT)
	s_mov_b32 m0, ttmp2
.LBB2_1759:                             ; =>This Inner Loop Header: Depth=1
	s_sethalt 5
	s_branch .LBB2_1759
.LBB2_1760:
	s_trap 2
	s_sendmsg_rtn_b32 s0, sendmsg(MSG_RTN_GET_DOORBELL)
	s_mov_b32 ttmp2, m0
	s_waitcnt lgkmcnt(0)
	s_and_b32 s0, s0, 0x3ff
	s_delay_alu instid0(SALU_CYCLE_1) | instskip(NEXT) | instid1(SALU_CYCLE_1)
	s_bitset1_b32 s0, 10
	s_mov_b32 m0, s0
	s_sendmsg sendmsg(MSG_INTERRUPT)
	s_mov_b32 m0, ttmp2
.LBB2_1761:                             ; =>This Inner Loop Header: Depth=1
	s_sethalt 5
	s_branch .LBB2_1761
.LBB2_1762:
	s_trap 2
	s_sendmsg_rtn_b32 s0, sendmsg(MSG_RTN_GET_DOORBELL)
	s_mov_b32 ttmp2, m0
	s_waitcnt lgkmcnt(0)
	s_and_b32 s0, s0, 0x3ff
	s_delay_alu instid0(SALU_CYCLE_1) | instskip(NEXT) | instid1(SALU_CYCLE_1)
	s_bitset1_b32 s0, 10
	s_mov_b32 m0, s0
	s_sendmsg sendmsg(MSG_INTERRUPT)
	s_mov_b32 m0, ttmp2
.LBB2_1763:                             ; =>This Inner Loop Header: Depth=1
	s_sethalt 5
	s_branch .LBB2_1763
.LBB2_1764:
	s_trap 2
	s_sendmsg_rtn_b32 s0, sendmsg(MSG_RTN_GET_DOORBELL)
	s_mov_b32 ttmp2, m0
	s_waitcnt lgkmcnt(0)
	s_and_b32 s0, s0, 0x3ff
	s_delay_alu instid0(SALU_CYCLE_1) | instskip(NEXT) | instid1(SALU_CYCLE_1)
	s_bitset1_b32 s0, 10
	s_mov_b32 m0, s0
	s_sendmsg sendmsg(MSG_INTERRUPT)
	s_mov_b32 m0, ttmp2
.LBB2_1765:                             ; =>This Inner Loop Header: Depth=1
	s_sethalt 5
	s_branch .LBB2_1765
.LBB2_1766:
	s_trap 2
	s_sendmsg_rtn_b32 s0, sendmsg(MSG_RTN_GET_DOORBELL)
	s_mov_b32 ttmp2, m0
	s_waitcnt lgkmcnt(0)
	s_and_b32 s0, s0, 0x3ff
	s_delay_alu instid0(SALU_CYCLE_1) | instskip(NEXT) | instid1(SALU_CYCLE_1)
	s_bitset1_b32 s0, 10
	s_mov_b32 m0, s0
	s_sendmsg sendmsg(MSG_INTERRUPT)
	s_mov_b32 m0, ttmp2
.LBB2_1767:                             ; =>This Inner Loop Header: Depth=1
	s_sethalt 5
	s_branch .LBB2_1767
.LBB2_1768:
	s_trap 2
	s_sendmsg_rtn_b32 s0, sendmsg(MSG_RTN_GET_DOORBELL)
	s_mov_b32 ttmp2, m0
	s_waitcnt lgkmcnt(0)
	s_and_b32 s0, s0, 0x3ff
	s_delay_alu instid0(SALU_CYCLE_1) | instskip(NEXT) | instid1(SALU_CYCLE_1)
	s_bitset1_b32 s0, 10
	s_mov_b32 m0, s0
	s_sendmsg sendmsg(MSG_INTERRUPT)
	s_mov_b32 m0, ttmp2
.LBB2_1769:                             ; =>This Inner Loop Header: Depth=1
	s_sethalt 5
	s_branch .LBB2_1769
.LBB2_1770:
	s_trap 2
	s_sendmsg_rtn_b32 s0, sendmsg(MSG_RTN_GET_DOORBELL)
	s_mov_b32 ttmp2, m0
	s_waitcnt lgkmcnt(0)
	s_and_b32 s0, s0, 0x3ff
	s_delay_alu instid0(SALU_CYCLE_1) | instskip(NEXT) | instid1(SALU_CYCLE_1)
	s_bitset1_b32 s0, 10
	s_mov_b32 m0, s0
	s_sendmsg sendmsg(MSG_INTERRUPT)
	s_mov_b32 m0, ttmp2
.LBB2_1771:                             ; =>This Inner Loop Header: Depth=1
	s_sethalt 5
	s_branch .LBB2_1771
.LBB2_1772:
	s_trap 2
	s_sendmsg_rtn_b32 s0, sendmsg(MSG_RTN_GET_DOORBELL)
	s_mov_b32 ttmp2, m0
	s_waitcnt lgkmcnt(0)
	s_and_b32 s0, s0, 0x3ff
	s_delay_alu instid0(SALU_CYCLE_1) | instskip(NEXT) | instid1(SALU_CYCLE_1)
	s_bitset1_b32 s0, 10
	s_mov_b32 m0, s0
	s_sendmsg sendmsg(MSG_INTERRUPT)
	s_mov_b32 m0, ttmp2
.LBB2_1773:                             ; =>This Inner Loop Header: Depth=1
	s_sethalt 5
	s_branch .LBB2_1773
.LBB2_1774:
	s_trap 2
	s_sendmsg_rtn_b32 s0, sendmsg(MSG_RTN_GET_DOORBELL)
	s_mov_b32 ttmp2, m0
	s_waitcnt lgkmcnt(0)
	s_and_b32 s0, s0, 0x3ff
	s_delay_alu instid0(SALU_CYCLE_1) | instskip(NEXT) | instid1(SALU_CYCLE_1)
	s_bitset1_b32 s0, 10
	s_mov_b32 m0, s0
	s_sendmsg sendmsg(MSG_INTERRUPT)
	s_mov_b32 m0, ttmp2
.LBB2_1775:                             ; =>This Inner Loop Header: Depth=1
	s_sethalt 5
	s_branch .LBB2_1775
.LBB2_1776:
	s_trap 2
	s_sendmsg_rtn_b32 s0, sendmsg(MSG_RTN_GET_DOORBELL)
	s_mov_b32 ttmp2, m0
	s_waitcnt lgkmcnt(0)
	s_and_b32 s0, s0, 0x3ff
	s_delay_alu instid0(SALU_CYCLE_1) | instskip(NEXT) | instid1(SALU_CYCLE_1)
	s_bitset1_b32 s0, 10
	s_mov_b32 m0, s0
	s_sendmsg sendmsg(MSG_INTERRUPT)
	s_mov_b32 m0, ttmp2
.LBB2_1777:                             ; =>This Inner Loop Header: Depth=1
	s_sethalt 5
	s_branch .LBB2_1777
.LBB2_1778:
	s_trap 2
	s_sendmsg_rtn_b32 s0, sendmsg(MSG_RTN_GET_DOORBELL)
	s_mov_b32 ttmp2, m0
	s_waitcnt lgkmcnt(0)
	s_and_b32 s0, s0, 0x3ff
	s_delay_alu instid0(SALU_CYCLE_1) | instskip(NEXT) | instid1(SALU_CYCLE_1)
	s_bitset1_b32 s0, 10
	s_mov_b32 m0, s0
	s_sendmsg sendmsg(MSG_INTERRUPT)
	s_mov_b32 m0, ttmp2
.LBB2_1779:                             ; =>This Inner Loop Header: Depth=1
	s_sethalt 5
	s_branch .LBB2_1779
.LBB2_1780:
	s_trap 2
	s_sendmsg_rtn_b32 s0, sendmsg(MSG_RTN_GET_DOORBELL)
	s_mov_b32 ttmp2, m0
	s_waitcnt lgkmcnt(0)
	s_and_b32 s0, s0, 0x3ff
	s_delay_alu instid0(SALU_CYCLE_1) | instskip(NEXT) | instid1(SALU_CYCLE_1)
	s_bitset1_b32 s0, 10
	s_mov_b32 m0, s0
	s_sendmsg sendmsg(MSG_INTERRUPT)
	s_mov_b32 m0, ttmp2
.LBB2_1781:                             ; =>This Inner Loop Header: Depth=1
	s_sethalt 5
	s_branch .LBB2_1781
.LBB2_1782:
	s_trap 2
	s_sendmsg_rtn_b32 s0, sendmsg(MSG_RTN_GET_DOORBELL)
	s_mov_b32 ttmp2, m0
	s_waitcnt lgkmcnt(0)
	s_and_b32 s0, s0, 0x3ff
	s_delay_alu instid0(SALU_CYCLE_1) | instskip(NEXT) | instid1(SALU_CYCLE_1)
	s_bitset1_b32 s0, 10
	s_mov_b32 m0, s0
	s_sendmsg sendmsg(MSG_INTERRUPT)
	s_mov_b32 m0, ttmp2
.LBB2_1783:                             ; =>This Inner Loop Header: Depth=1
	s_sethalt 5
	s_branch .LBB2_1783
.LBB2_1784:
	s_trap 2
	s_sendmsg_rtn_b32 s0, sendmsg(MSG_RTN_GET_DOORBELL)
	s_mov_b32 ttmp2, m0
	s_waitcnt lgkmcnt(0)
	s_and_b32 s0, s0, 0x3ff
	s_delay_alu instid0(SALU_CYCLE_1) | instskip(NEXT) | instid1(SALU_CYCLE_1)
	s_bitset1_b32 s0, 10
	s_mov_b32 m0, s0
	s_sendmsg sendmsg(MSG_INTERRUPT)
	s_mov_b32 m0, ttmp2
.LBB2_1785:                             ; =>This Inner Loop Header: Depth=1
	s_sethalt 5
	s_branch .LBB2_1785
.LBB2_1786:
	s_trap 2
	s_sendmsg_rtn_b32 s0, sendmsg(MSG_RTN_GET_DOORBELL)
	s_mov_b32 ttmp2, m0
	s_waitcnt lgkmcnt(0)
	s_and_b32 s0, s0, 0x3ff
	s_delay_alu instid0(SALU_CYCLE_1) | instskip(NEXT) | instid1(SALU_CYCLE_1)
	s_bitset1_b32 s0, 10
	s_mov_b32 m0, s0
	s_sendmsg sendmsg(MSG_INTERRUPT)
	s_mov_b32 m0, ttmp2
.LBB2_1787:                             ; =>This Inner Loop Header: Depth=1
	s_sethalt 5
	s_branch .LBB2_1787
.LBB2_1788:
	s_trap 2
	s_sendmsg_rtn_b32 s0, sendmsg(MSG_RTN_GET_DOORBELL)
	s_mov_b32 ttmp2, m0
	s_waitcnt lgkmcnt(0)
	s_and_b32 s0, s0, 0x3ff
	s_delay_alu instid0(SALU_CYCLE_1) | instskip(NEXT) | instid1(SALU_CYCLE_1)
	s_bitset1_b32 s0, 10
	s_mov_b32 m0, s0
	s_sendmsg sendmsg(MSG_INTERRUPT)
	s_mov_b32 m0, ttmp2
.LBB2_1789:                             ; =>This Inner Loop Header: Depth=1
	s_sethalt 5
	s_branch .LBB2_1789
.LBB2_1790:
	s_trap 2
	s_sendmsg_rtn_b32 s0, sendmsg(MSG_RTN_GET_DOORBELL)
	s_mov_b32 ttmp2, m0
	s_waitcnt lgkmcnt(0)
	s_and_b32 s0, s0, 0x3ff
	s_delay_alu instid0(SALU_CYCLE_1) | instskip(NEXT) | instid1(SALU_CYCLE_1)
	s_bitset1_b32 s0, 10
	s_mov_b32 m0, s0
	s_sendmsg sendmsg(MSG_INTERRUPT)
	s_mov_b32 m0, ttmp2
.LBB2_1791:                             ; =>This Inner Loop Header: Depth=1
	s_sethalt 5
	s_branch .LBB2_1791
.LBB2_1792:
	s_trap 2
	s_sendmsg_rtn_b32 s0, sendmsg(MSG_RTN_GET_DOORBELL)
	s_mov_b32 ttmp2, m0
	s_waitcnt lgkmcnt(0)
	s_and_b32 s0, s0, 0x3ff
	s_delay_alu instid0(SALU_CYCLE_1) | instskip(NEXT) | instid1(SALU_CYCLE_1)
	s_bitset1_b32 s0, 10
	s_mov_b32 m0, s0
	s_sendmsg sendmsg(MSG_INTERRUPT)
	s_mov_b32 m0, ttmp2
.LBB2_1793:                             ; =>This Inner Loop Header: Depth=1
	s_sethalt 5
	s_branch .LBB2_1793
.LBB2_1794:
	s_trap 2
	s_sendmsg_rtn_b32 s0, sendmsg(MSG_RTN_GET_DOORBELL)
	s_mov_b32 ttmp2, m0
	s_waitcnt lgkmcnt(0)
	s_and_b32 s0, s0, 0x3ff
	s_delay_alu instid0(SALU_CYCLE_1) | instskip(NEXT) | instid1(SALU_CYCLE_1)
	s_bitset1_b32 s0, 10
	s_mov_b32 m0, s0
	s_sendmsg sendmsg(MSG_INTERRUPT)
	s_mov_b32 m0, ttmp2
.LBB2_1795:                             ; =>This Inner Loop Header: Depth=1
	s_sethalt 5
	s_branch .LBB2_1795
.LBB2_1796:
	s_trap 2
	s_sendmsg_rtn_b32 s0, sendmsg(MSG_RTN_GET_DOORBELL)
	s_mov_b32 ttmp2, m0
	s_waitcnt lgkmcnt(0)
	s_and_b32 s0, s0, 0x3ff
	s_delay_alu instid0(SALU_CYCLE_1) | instskip(NEXT) | instid1(SALU_CYCLE_1)
	s_bitset1_b32 s0, 10
	s_mov_b32 m0, s0
	s_sendmsg sendmsg(MSG_INTERRUPT)
	s_mov_b32 m0, ttmp2
.LBB2_1797:                             ; =>This Inner Loop Header: Depth=1
	s_sethalt 5
	s_branch .LBB2_1797
.LBB2_1798:
	s_trap 2
	s_sendmsg_rtn_b32 s0, sendmsg(MSG_RTN_GET_DOORBELL)
	s_mov_b32 ttmp2, m0
	s_waitcnt lgkmcnt(0)
	s_and_b32 s0, s0, 0x3ff
	s_delay_alu instid0(SALU_CYCLE_1) | instskip(NEXT) | instid1(SALU_CYCLE_1)
	s_bitset1_b32 s0, 10
	s_mov_b32 m0, s0
	s_sendmsg sendmsg(MSG_INTERRUPT)
	s_mov_b32 m0, ttmp2
.LBB2_1799:                             ; =>This Inner Loop Header: Depth=1
	s_sethalt 5
	s_branch .LBB2_1799
.LBB2_1800:
	s_trap 2
	s_sendmsg_rtn_b32 s0, sendmsg(MSG_RTN_GET_DOORBELL)
	s_mov_b32 ttmp2, m0
	s_waitcnt lgkmcnt(0)
	s_and_b32 s0, s0, 0x3ff
	s_delay_alu instid0(SALU_CYCLE_1) | instskip(NEXT) | instid1(SALU_CYCLE_1)
	s_bitset1_b32 s0, 10
	s_mov_b32 m0, s0
	s_sendmsg sendmsg(MSG_INTERRUPT)
	s_mov_b32 m0, ttmp2
.LBB2_1801:                             ; =>This Inner Loop Header: Depth=1
	s_sethalt 5
	s_branch .LBB2_1801
.LBB2_1802:
	s_trap 2
	s_sendmsg_rtn_b32 s0, sendmsg(MSG_RTN_GET_DOORBELL)
	s_mov_b32 ttmp2, m0
	s_waitcnt lgkmcnt(0)
	s_and_b32 s0, s0, 0x3ff
	s_delay_alu instid0(SALU_CYCLE_1) | instskip(NEXT) | instid1(SALU_CYCLE_1)
	s_bitset1_b32 s0, 10
	s_mov_b32 m0, s0
	s_sendmsg sendmsg(MSG_INTERRUPT)
	s_mov_b32 m0, ttmp2
.LBB2_1803:                             ; =>This Inner Loop Header: Depth=1
	s_sethalt 5
	s_branch .LBB2_1803
.LBB2_1804:
	s_trap 2
	s_sendmsg_rtn_b32 s0, sendmsg(MSG_RTN_GET_DOORBELL)
	s_mov_b32 ttmp2, m0
	s_waitcnt lgkmcnt(0)
	s_and_b32 s0, s0, 0x3ff
	s_delay_alu instid0(SALU_CYCLE_1) | instskip(NEXT) | instid1(SALU_CYCLE_1)
	s_bitset1_b32 s0, 10
	s_mov_b32 m0, s0
	s_sendmsg sendmsg(MSG_INTERRUPT)
	s_mov_b32 m0, ttmp2
.LBB2_1805:                             ; =>This Inner Loop Header: Depth=1
	s_sethalt 5
	s_branch .LBB2_1805
.LBB2_1806:
	s_trap 2
	s_sendmsg_rtn_b32 s0, sendmsg(MSG_RTN_GET_DOORBELL)
	s_mov_b32 ttmp2, m0
	s_waitcnt lgkmcnt(0)
	s_and_b32 s0, s0, 0x3ff
	s_delay_alu instid0(SALU_CYCLE_1) | instskip(NEXT) | instid1(SALU_CYCLE_1)
	s_bitset1_b32 s0, 10
	s_mov_b32 m0, s0
	s_sendmsg sendmsg(MSG_INTERRUPT)
	s_mov_b32 m0, ttmp2
.LBB2_1807:                             ; =>This Inner Loop Header: Depth=1
	s_sethalt 5
	s_branch .LBB2_1807
.LBB2_1808:
	s_trap 2
	s_sendmsg_rtn_b32 s0, sendmsg(MSG_RTN_GET_DOORBELL)
	s_mov_b32 ttmp2, m0
	s_waitcnt lgkmcnt(0)
	s_and_b32 s0, s0, 0x3ff
	s_delay_alu instid0(SALU_CYCLE_1) | instskip(NEXT) | instid1(SALU_CYCLE_1)
	s_bitset1_b32 s0, 10
	s_mov_b32 m0, s0
	s_sendmsg sendmsg(MSG_INTERRUPT)
	s_mov_b32 m0, ttmp2
.LBB2_1809:                             ; =>This Inner Loop Header: Depth=1
	s_sethalt 5
	s_branch .LBB2_1809
.LBB2_1810:
	s_trap 2
	s_sendmsg_rtn_b32 s0, sendmsg(MSG_RTN_GET_DOORBELL)
	s_mov_b32 ttmp2, m0
	s_waitcnt lgkmcnt(0)
	s_and_b32 s0, s0, 0x3ff
	s_delay_alu instid0(SALU_CYCLE_1) | instskip(NEXT) | instid1(SALU_CYCLE_1)
	s_bitset1_b32 s0, 10
	s_mov_b32 m0, s0
	s_sendmsg sendmsg(MSG_INTERRUPT)
	s_mov_b32 m0, ttmp2
.LBB2_1811:                             ; =>This Inner Loop Header: Depth=1
	s_sethalt 5
	s_branch .LBB2_1811
.LBB2_1812:
	s_trap 2
	s_sendmsg_rtn_b32 s0, sendmsg(MSG_RTN_GET_DOORBELL)
	s_mov_b32 ttmp2, m0
	s_waitcnt lgkmcnt(0)
	s_and_b32 s0, s0, 0x3ff
	s_delay_alu instid0(SALU_CYCLE_1) | instskip(NEXT) | instid1(SALU_CYCLE_1)
	s_bitset1_b32 s0, 10
	s_mov_b32 m0, s0
	s_sendmsg sendmsg(MSG_INTERRUPT)
	s_mov_b32 m0, ttmp2
.LBB2_1813:                             ; =>This Inner Loop Header: Depth=1
	s_sethalt 5
	s_branch .LBB2_1813
.LBB2_1814:
	s_trap 2
	s_sendmsg_rtn_b32 s0, sendmsg(MSG_RTN_GET_DOORBELL)
	s_mov_b32 ttmp2, m0
	s_waitcnt lgkmcnt(0)
	s_and_b32 s0, s0, 0x3ff
	s_delay_alu instid0(SALU_CYCLE_1) | instskip(NEXT) | instid1(SALU_CYCLE_1)
	s_bitset1_b32 s0, 10
	s_mov_b32 m0, s0
	s_sendmsg sendmsg(MSG_INTERRUPT)
	s_mov_b32 m0, ttmp2
.LBB2_1815:                             ; =>This Inner Loop Header: Depth=1
	s_sethalt 5
	s_branch .LBB2_1815
.LBB2_1816:
	s_trap 2
	s_sendmsg_rtn_b32 s0, sendmsg(MSG_RTN_GET_DOORBELL)
	s_mov_b32 ttmp2, m0
	s_waitcnt lgkmcnt(0)
	s_and_b32 s0, s0, 0x3ff
	s_delay_alu instid0(SALU_CYCLE_1) | instskip(NEXT) | instid1(SALU_CYCLE_1)
	s_bitset1_b32 s0, 10
	s_mov_b32 m0, s0
	s_sendmsg sendmsg(MSG_INTERRUPT)
	s_mov_b32 m0, ttmp2
.LBB2_1817:                             ; =>This Inner Loop Header: Depth=1
	s_sethalt 5
	s_branch .LBB2_1817
.LBB2_1818:
	s_trap 2
	s_sendmsg_rtn_b32 s0, sendmsg(MSG_RTN_GET_DOORBELL)
	s_mov_b32 ttmp2, m0
	s_waitcnt lgkmcnt(0)
	s_and_b32 s0, s0, 0x3ff
	s_delay_alu instid0(SALU_CYCLE_1) | instskip(NEXT) | instid1(SALU_CYCLE_1)
	s_bitset1_b32 s0, 10
	s_mov_b32 m0, s0
	s_sendmsg sendmsg(MSG_INTERRUPT)
	s_mov_b32 m0, ttmp2
.LBB2_1819:                             ; =>This Inner Loop Header: Depth=1
	s_sethalt 5
	s_branch .LBB2_1819
.LBB2_1820:
	s_trap 2
	s_sendmsg_rtn_b32 s0, sendmsg(MSG_RTN_GET_DOORBELL)
	s_mov_b32 ttmp2, m0
	s_waitcnt lgkmcnt(0)
	s_and_b32 s0, s0, 0x3ff
	s_delay_alu instid0(SALU_CYCLE_1) | instskip(NEXT) | instid1(SALU_CYCLE_1)
	s_bitset1_b32 s0, 10
	s_mov_b32 m0, s0
	s_sendmsg sendmsg(MSG_INTERRUPT)
	s_mov_b32 m0, ttmp2
.LBB2_1821:                             ; =>This Inner Loop Header: Depth=1
	s_sethalt 5
	s_branch .LBB2_1821
.LBB2_1822:
	s_trap 2
	s_sendmsg_rtn_b32 s0, sendmsg(MSG_RTN_GET_DOORBELL)
	s_mov_b32 ttmp2, m0
	s_waitcnt lgkmcnt(0)
	s_and_b32 s0, s0, 0x3ff
	s_delay_alu instid0(SALU_CYCLE_1) | instskip(NEXT) | instid1(SALU_CYCLE_1)
	s_bitset1_b32 s0, 10
	s_mov_b32 m0, s0
	s_sendmsg sendmsg(MSG_INTERRUPT)
	s_mov_b32 m0, ttmp2
.LBB2_1823:                             ; =>This Inner Loop Header: Depth=1
	s_sethalt 5
	s_branch .LBB2_1823
.LBB2_1824:
	s_trap 2
	s_sendmsg_rtn_b32 s0, sendmsg(MSG_RTN_GET_DOORBELL)
	s_mov_b32 ttmp2, m0
	s_waitcnt lgkmcnt(0)
	s_and_b32 s0, s0, 0x3ff
	s_delay_alu instid0(SALU_CYCLE_1) | instskip(NEXT) | instid1(SALU_CYCLE_1)
	s_bitset1_b32 s0, 10
	s_mov_b32 m0, s0
	s_sendmsg sendmsg(MSG_INTERRUPT)
	s_mov_b32 m0, ttmp2
.LBB2_1825:                             ; =>This Inner Loop Header: Depth=1
	s_sethalt 5
	s_branch .LBB2_1825
.LBB2_1826:
	s_trap 2
	s_sendmsg_rtn_b32 s0, sendmsg(MSG_RTN_GET_DOORBELL)
	s_mov_b32 ttmp2, m0
	s_waitcnt lgkmcnt(0)
	s_and_b32 s0, s0, 0x3ff
	s_delay_alu instid0(SALU_CYCLE_1) | instskip(NEXT) | instid1(SALU_CYCLE_1)
	s_bitset1_b32 s0, 10
	s_mov_b32 m0, s0
	s_sendmsg sendmsg(MSG_INTERRUPT)
	s_mov_b32 m0, ttmp2
.LBB2_1827:                             ; =>This Inner Loop Header: Depth=1
	s_sethalt 5
	s_branch .LBB2_1827
.LBB2_1828:
	s_trap 2
	s_sendmsg_rtn_b32 s0, sendmsg(MSG_RTN_GET_DOORBELL)
	s_mov_b32 ttmp2, m0
	s_waitcnt lgkmcnt(0)
	s_and_b32 s0, s0, 0x3ff
	s_delay_alu instid0(SALU_CYCLE_1) | instskip(NEXT) | instid1(SALU_CYCLE_1)
	s_bitset1_b32 s0, 10
	s_mov_b32 m0, s0
	s_sendmsg sendmsg(MSG_INTERRUPT)
	s_mov_b32 m0, ttmp2
.LBB2_1829:                             ; =>This Inner Loop Header: Depth=1
	s_sethalt 5
	s_branch .LBB2_1829
.LBB2_1830:
	s_trap 2
	s_sendmsg_rtn_b32 s0, sendmsg(MSG_RTN_GET_DOORBELL)
	s_mov_b32 ttmp2, m0
	s_waitcnt lgkmcnt(0)
	s_and_b32 s0, s0, 0x3ff
	s_delay_alu instid0(SALU_CYCLE_1) | instskip(NEXT) | instid1(SALU_CYCLE_1)
	s_bitset1_b32 s0, 10
	s_mov_b32 m0, s0
	s_sendmsg sendmsg(MSG_INTERRUPT)
	s_mov_b32 m0, ttmp2
.LBB2_1831:                             ; =>This Inner Loop Header: Depth=1
	s_sethalt 5
	s_branch .LBB2_1831
.LBB2_1832:
	s_trap 2
	s_sendmsg_rtn_b32 s0, sendmsg(MSG_RTN_GET_DOORBELL)
	s_mov_b32 ttmp2, m0
	s_waitcnt lgkmcnt(0)
	s_and_b32 s0, s0, 0x3ff
	s_delay_alu instid0(SALU_CYCLE_1) | instskip(NEXT) | instid1(SALU_CYCLE_1)
	s_bitset1_b32 s0, 10
	s_mov_b32 m0, s0
	s_sendmsg sendmsg(MSG_INTERRUPT)
	s_mov_b32 m0, ttmp2
.LBB2_1833:                             ; =>This Inner Loop Header: Depth=1
	s_sethalt 5
	s_branch .LBB2_1833
.LBB2_1834:
	s_trap 2
	s_sendmsg_rtn_b32 s0, sendmsg(MSG_RTN_GET_DOORBELL)
	s_mov_b32 ttmp2, m0
	s_waitcnt lgkmcnt(0)
	s_and_b32 s0, s0, 0x3ff
	s_delay_alu instid0(SALU_CYCLE_1) | instskip(NEXT) | instid1(SALU_CYCLE_1)
	s_bitset1_b32 s0, 10
	s_mov_b32 m0, s0
	s_sendmsg sendmsg(MSG_INTERRUPT)
	s_mov_b32 m0, ttmp2
.LBB2_1835:                             ; =>This Inner Loop Header: Depth=1
	s_sethalt 5
	s_branch .LBB2_1835
.LBB2_1836:
	s_trap 2
	s_sendmsg_rtn_b32 s0, sendmsg(MSG_RTN_GET_DOORBELL)
	s_mov_b32 ttmp2, m0
	s_waitcnt lgkmcnt(0)
	s_and_b32 s0, s0, 0x3ff
	s_delay_alu instid0(SALU_CYCLE_1) | instskip(NEXT) | instid1(SALU_CYCLE_1)
	s_bitset1_b32 s0, 10
	s_mov_b32 m0, s0
	s_sendmsg sendmsg(MSG_INTERRUPT)
	s_mov_b32 m0, ttmp2
.LBB2_1837:                             ; =>This Inner Loop Header: Depth=1
	s_sethalt 5
	s_branch .LBB2_1837
.LBB2_1838:
	s_trap 2
	s_sendmsg_rtn_b32 s0, sendmsg(MSG_RTN_GET_DOORBELL)
	s_mov_b32 ttmp2, m0
	s_waitcnt lgkmcnt(0)
	s_and_b32 s0, s0, 0x3ff
	s_delay_alu instid0(SALU_CYCLE_1) | instskip(NEXT) | instid1(SALU_CYCLE_1)
	s_bitset1_b32 s0, 10
	s_mov_b32 m0, s0
	s_sendmsg sendmsg(MSG_INTERRUPT)
	s_mov_b32 m0, ttmp2
.LBB2_1839:                             ; =>This Inner Loop Header: Depth=1
	s_sethalt 5
	s_branch .LBB2_1839
.LBB2_1840:
	s_trap 2
	s_sendmsg_rtn_b32 s0, sendmsg(MSG_RTN_GET_DOORBELL)
	s_mov_b32 ttmp2, m0
	s_waitcnt lgkmcnt(0)
	s_and_b32 s0, s0, 0x3ff
	s_delay_alu instid0(SALU_CYCLE_1) | instskip(NEXT) | instid1(SALU_CYCLE_1)
	s_bitset1_b32 s0, 10
	s_mov_b32 m0, s0
	s_sendmsg sendmsg(MSG_INTERRUPT)
	s_mov_b32 m0, ttmp2
.LBB2_1841:                             ; =>This Inner Loop Header: Depth=1
	s_sethalt 5
	s_branch .LBB2_1841
.LBB2_1842:
	s_trap 2
	s_sendmsg_rtn_b32 s0, sendmsg(MSG_RTN_GET_DOORBELL)
	s_mov_b32 ttmp2, m0
	s_waitcnt lgkmcnt(0)
	s_and_b32 s0, s0, 0x3ff
	s_delay_alu instid0(SALU_CYCLE_1) | instskip(NEXT) | instid1(SALU_CYCLE_1)
	s_bitset1_b32 s0, 10
	s_mov_b32 m0, s0
	s_sendmsg sendmsg(MSG_INTERRUPT)
	s_mov_b32 m0, ttmp2
.LBB2_1843:                             ; =>This Inner Loop Header: Depth=1
	s_sethalt 5
	s_branch .LBB2_1843
.LBB2_1844:
	s_trap 2
	s_sendmsg_rtn_b32 s0, sendmsg(MSG_RTN_GET_DOORBELL)
	s_mov_b32 ttmp2, m0
	s_waitcnt lgkmcnt(0)
	s_and_b32 s0, s0, 0x3ff
	s_delay_alu instid0(SALU_CYCLE_1) | instskip(NEXT) | instid1(SALU_CYCLE_1)
	s_bitset1_b32 s0, 10
	s_mov_b32 m0, s0
	s_sendmsg sendmsg(MSG_INTERRUPT)
	s_mov_b32 m0, ttmp2
.LBB2_1845:                             ; =>This Inner Loop Header: Depth=1
	s_sethalt 5
	s_branch .LBB2_1845
.LBB2_1846:
	s_trap 2
	s_sendmsg_rtn_b32 s0, sendmsg(MSG_RTN_GET_DOORBELL)
	s_mov_b32 ttmp2, m0
	s_waitcnt lgkmcnt(0)
	s_and_b32 s0, s0, 0x3ff
	s_delay_alu instid0(SALU_CYCLE_1) | instskip(NEXT) | instid1(SALU_CYCLE_1)
	s_bitset1_b32 s0, 10
	s_mov_b32 m0, s0
	s_sendmsg sendmsg(MSG_INTERRUPT)
	s_mov_b32 m0, ttmp2
.LBB2_1847:                             ; =>This Inner Loop Header: Depth=1
	s_sethalt 5
	s_branch .LBB2_1847
.LBB2_1848:
	s_trap 2
	s_sendmsg_rtn_b32 s0, sendmsg(MSG_RTN_GET_DOORBELL)
	s_mov_b32 ttmp2, m0
	s_waitcnt lgkmcnt(0)
	s_and_b32 s0, s0, 0x3ff
	s_delay_alu instid0(SALU_CYCLE_1) | instskip(NEXT) | instid1(SALU_CYCLE_1)
	s_bitset1_b32 s0, 10
	s_mov_b32 m0, s0
	s_sendmsg sendmsg(MSG_INTERRUPT)
	s_mov_b32 m0, ttmp2
.LBB2_1849:                             ; =>This Inner Loop Header: Depth=1
	s_sethalt 5
	s_branch .LBB2_1849
.LBB2_1850:
	s_trap 2
	s_sendmsg_rtn_b32 s0, sendmsg(MSG_RTN_GET_DOORBELL)
	s_mov_b32 ttmp2, m0
	s_waitcnt lgkmcnt(0)
	s_and_b32 s0, s0, 0x3ff
	s_delay_alu instid0(SALU_CYCLE_1) | instskip(NEXT) | instid1(SALU_CYCLE_1)
	s_bitset1_b32 s0, 10
	s_mov_b32 m0, s0
	s_sendmsg sendmsg(MSG_INTERRUPT)
	s_mov_b32 m0, ttmp2
.LBB2_1851:                             ; =>This Inner Loop Header: Depth=1
	s_sethalt 5
	s_branch .LBB2_1851
.LBB2_1852:
	s_trap 2
	s_sendmsg_rtn_b32 s0, sendmsg(MSG_RTN_GET_DOORBELL)
	s_mov_b32 ttmp2, m0
	s_waitcnt lgkmcnt(0)
	s_and_b32 s0, s0, 0x3ff
	s_delay_alu instid0(SALU_CYCLE_1) | instskip(NEXT) | instid1(SALU_CYCLE_1)
	s_bitset1_b32 s0, 10
	s_mov_b32 m0, s0
	s_sendmsg sendmsg(MSG_INTERRUPT)
	s_mov_b32 m0, ttmp2
.LBB2_1853:                             ; =>This Inner Loop Header: Depth=1
	s_sethalt 5
	s_branch .LBB2_1853
.LBB2_1854:
	s_trap 2
	s_sendmsg_rtn_b32 s0, sendmsg(MSG_RTN_GET_DOORBELL)
	s_mov_b32 ttmp2, m0
	s_waitcnt lgkmcnt(0)
	s_and_b32 s0, s0, 0x3ff
	s_delay_alu instid0(SALU_CYCLE_1) | instskip(NEXT) | instid1(SALU_CYCLE_1)
	s_bitset1_b32 s0, 10
	s_mov_b32 m0, s0
	s_sendmsg sendmsg(MSG_INTERRUPT)
	s_mov_b32 m0, ttmp2
.LBB2_1855:                             ; =>This Inner Loop Header: Depth=1
	s_sethalt 5
	s_branch .LBB2_1855
.LBB2_1856:
	s_trap 2
	s_sendmsg_rtn_b32 s0, sendmsg(MSG_RTN_GET_DOORBELL)
	s_mov_b32 ttmp2, m0
	s_waitcnt lgkmcnt(0)
	s_and_b32 s0, s0, 0x3ff
	s_delay_alu instid0(SALU_CYCLE_1) | instskip(NEXT) | instid1(SALU_CYCLE_1)
	s_bitset1_b32 s0, 10
	s_mov_b32 m0, s0
	s_sendmsg sendmsg(MSG_INTERRUPT)
	s_mov_b32 m0, ttmp2
.LBB2_1857:                             ; =>This Inner Loop Header: Depth=1
	s_sethalt 5
	s_branch .LBB2_1857
.LBB2_1858:
	s_trap 2
	s_sendmsg_rtn_b32 s0, sendmsg(MSG_RTN_GET_DOORBELL)
	s_mov_b32 ttmp2, m0
	s_waitcnt lgkmcnt(0)
	s_and_b32 s0, s0, 0x3ff
	s_delay_alu instid0(SALU_CYCLE_1) | instskip(NEXT) | instid1(SALU_CYCLE_1)
	s_bitset1_b32 s0, 10
	s_mov_b32 m0, s0
	s_sendmsg sendmsg(MSG_INTERRUPT)
	s_mov_b32 m0, ttmp2
.LBB2_1859:                             ; =>This Inner Loop Header: Depth=1
	s_sethalt 5
	s_branch .LBB2_1859
.LBB2_1860:
	s_trap 2
	s_sendmsg_rtn_b32 s0, sendmsg(MSG_RTN_GET_DOORBELL)
	s_mov_b32 ttmp2, m0
	s_waitcnt lgkmcnt(0)
	s_and_b32 s0, s0, 0x3ff
	s_delay_alu instid0(SALU_CYCLE_1) | instskip(NEXT) | instid1(SALU_CYCLE_1)
	s_bitset1_b32 s0, 10
	s_mov_b32 m0, s0
	s_sendmsg sendmsg(MSG_INTERRUPT)
	s_mov_b32 m0, ttmp2
.LBB2_1861:                             ; =>This Inner Loop Header: Depth=1
	s_sethalt 5
	s_branch .LBB2_1861
.LBB2_1862:
	s_trap 2
	s_sendmsg_rtn_b32 s0, sendmsg(MSG_RTN_GET_DOORBELL)
	s_mov_b32 ttmp2, m0
	s_waitcnt lgkmcnt(0)
	s_and_b32 s0, s0, 0x3ff
	s_delay_alu instid0(SALU_CYCLE_1) | instskip(NEXT) | instid1(SALU_CYCLE_1)
	s_bitset1_b32 s0, 10
	s_mov_b32 m0, s0
	s_sendmsg sendmsg(MSG_INTERRUPT)
	s_mov_b32 m0, ttmp2
.LBB2_1863:                             ; =>This Inner Loop Header: Depth=1
	s_sethalt 5
	s_branch .LBB2_1863
.LBB2_1864:
	s_trap 2
	s_sendmsg_rtn_b32 s0, sendmsg(MSG_RTN_GET_DOORBELL)
	s_mov_b32 ttmp2, m0
	s_waitcnt lgkmcnt(0)
	s_and_b32 s0, s0, 0x3ff
	s_delay_alu instid0(SALU_CYCLE_1) | instskip(NEXT) | instid1(SALU_CYCLE_1)
	s_bitset1_b32 s0, 10
	s_mov_b32 m0, s0
	s_sendmsg sendmsg(MSG_INTERRUPT)
	s_mov_b32 m0, ttmp2
.LBB2_1865:                             ; =>This Inner Loop Header: Depth=1
	s_sethalt 5
	s_branch .LBB2_1865
.LBB2_1866:
	s_trap 2
	s_sendmsg_rtn_b32 s0, sendmsg(MSG_RTN_GET_DOORBELL)
	s_mov_b32 ttmp2, m0
	s_waitcnt lgkmcnt(0)
	s_and_b32 s0, s0, 0x3ff
	s_delay_alu instid0(SALU_CYCLE_1) | instskip(NEXT) | instid1(SALU_CYCLE_1)
	s_bitset1_b32 s0, 10
	s_mov_b32 m0, s0
	s_sendmsg sendmsg(MSG_INTERRUPT)
	s_mov_b32 m0, ttmp2
.LBB2_1867:                             ; =>This Inner Loop Header: Depth=1
	s_sethalt 5
	s_branch .LBB2_1867
.LBB2_1868:
	s_trap 2
	s_sendmsg_rtn_b32 s0, sendmsg(MSG_RTN_GET_DOORBELL)
	s_mov_b32 ttmp2, m0
	s_waitcnt lgkmcnt(0)
	s_and_b32 s0, s0, 0x3ff
	s_delay_alu instid0(SALU_CYCLE_1) | instskip(NEXT) | instid1(SALU_CYCLE_1)
	s_bitset1_b32 s0, 10
	s_mov_b32 m0, s0
	s_sendmsg sendmsg(MSG_INTERRUPT)
	s_mov_b32 m0, ttmp2
.LBB2_1869:                             ; =>This Inner Loop Header: Depth=1
	s_sethalt 5
	s_branch .LBB2_1869
.LBB2_1870:
	s_trap 2
	s_sendmsg_rtn_b32 s0, sendmsg(MSG_RTN_GET_DOORBELL)
	s_mov_b32 ttmp2, m0
	s_waitcnt lgkmcnt(0)
	s_and_b32 s0, s0, 0x3ff
	s_delay_alu instid0(SALU_CYCLE_1) | instskip(NEXT) | instid1(SALU_CYCLE_1)
	s_bitset1_b32 s0, 10
	s_mov_b32 m0, s0
	s_sendmsg sendmsg(MSG_INTERRUPT)
	s_mov_b32 m0, ttmp2
.LBB2_1871:                             ; =>This Inner Loop Header: Depth=1
	s_sethalt 5
	s_branch .LBB2_1871
.LBB2_1872:
	s_trap 2
	s_sendmsg_rtn_b32 s0, sendmsg(MSG_RTN_GET_DOORBELL)
	s_mov_b32 ttmp2, m0
	s_waitcnt lgkmcnt(0)
	s_and_b32 s0, s0, 0x3ff
	s_delay_alu instid0(SALU_CYCLE_1) | instskip(NEXT) | instid1(SALU_CYCLE_1)
	s_bitset1_b32 s0, 10
	s_mov_b32 m0, s0
	s_sendmsg sendmsg(MSG_INTERRUPT)
	s_mov_b32 m0, ttmp2
.LBB2_1873:                             ; =>This Inner Loop Header: Depth=1
	s_sethalt 5
	s_branch .LBB2_1873
.LBB2_1874:
	s_trap 2
	s_sendmsg_rtn_b32 s0, sendmsg(MSG_RTN_GET_DOORBELL)
	s_mov_b32 ttmp2, m0
	s_waitcnt lgkmcnt(0)
	s_and_b32 s0, s0, 0x3ff
	s_delay_alu instid0(SALU_CYCLE_1) | instskip(NEXT) | instid1(SALU_CYCLE_1)
	s_bitset1_b32 s0, 10
	s_mov_b32 m0, s0
	s_sendmsg sendmsg(MSG_INTERRUPT)
	s_mov_b32 m0, ttmp2
.LBB2_1875:                             ; =>This Inner Loop Header: Depth=1
	s_sethalt 5
	s_branch .LBB2_1875
.LBB2_1876:
	s_trap 2
	s_sendmsg_rtn_b32 s0, sendmsg(MSG_RTN_GET_DOORBELL)
	s_mov_b32 ttmp2, m0
	s_waitcnt lgkmcnt(0)
	s_and_b32 s0, s0, 0x3ff
	s_delay_alu instid0(SALU_CYCLE_1) | instskip(NEXT) | instid1(SALU_CYCLE_1)
	s_bitset1_b32 s0, 10
	s_mov_b32 m0, s0
	s_sendmsg sendmsg(MSG_INTERRUPT)
	s_mov_b32 m0, ttmp2
.LBB2_1877:                             ; =>This Inner Loop Header: Depth=1
	s_sethalt 5
	s_branch .LBB2_1877
.LBB2_1878:
	s_trap 2
	s_sendmsg_rtn_b32 s0, sendmsg(MSG_RTN_GET_DOORBELL)
	s_mov_b32 ttmp2, m0
	s_waitcnt lgkmcnt(0)
	s_and_b32 s0, s0, 0x3ff
	s_delay_alu instid0(SALU_CYCLE_1) | instskip(NEXT) | instid1(SALU_CYCLE_1)
	s_bitset1_b32 s0, 10
	s_mov_b32 m0, s0
	s_sendmsg sendmsg(MSG_INTERRUPT)
	s_mov_b32 m0, ttmp2
.LBB2_1879:                             ; =>This Inner Loop Header: Depth=1
	s_sethalt 5
	s_branch .LBB2_1879
.LBB2_1880:
	s_trap 2
	s_sendmsg_rtn_b32 s0, sendmsg(MSG_RTN_GET_DOORBELL)
	s_mov_b32 ttmp2, m0
	s_waitcnt lgkmcnt(0)
	s_and_b32 s0, s0, 0x3ff
	s_delay_alu instid0(SALU_CYCLE_1) | instskip(NEXT) | instid1(SALU_CYCLE_1)
	s_bitset1_b32 s0, 10
	s_mov_b32 m0, s0
	s_sendmsg sendmsg(MSG_INTERRUPT)
	s_mov_b32 m0, ttmp2
.LBB2_1881:                             ; =>This Inner Loop Header: Depth=1
	s_sethalt 5
	s_branch .LBB2_1881
.LBB2_1882:
	s_trap 2
	s_sendmsg_rtn_b32 s0, sendmsg(MSG_RTN_GET_DOORBELL)
	s_mov_b32 ttmp2, m0
	s_waitcnt lgkmcnt(0)
	s_and_b32 s0, s0, 0x3ff
	s_delay_alu instid0(SALU_CYCLE_1) | instskip(NEXT) | instid1(SALU_CYCLE_1)
	s_bitset1_b32 s0, 10
	s_mov_b32 m0, s0
	s_sendmsg sendmsg(MSG_INTERRUPT)
	s_mov_b32 m0, ttmp2
.LBB2_1883:                             ; =>This Inner Loop Header: Depth=1
	s_sethalt 5
	s_branch .LBB2_1883
.LBB2_1884:
	s_trap 2
	s_sendmsg_rtn_b32 s0, sendmsg(MSG_RTN_GET_DOORBELL)
	s_mov_b32 ttmp2, m0
	s_waitcnt lgkmcnt(0)
	s_and_b32 s0, s0, 0x3ff
	s_delay_alu instid0(SALU_CYCLE_1) | instskip(NEXT) | instid1(SALU_CYCLE_1)
	s_bitset1_b32 s0, 10
	s_mov_b32 m0, s0
	s_sendmsg sendmsg(MSG_INTERRUPT)
	s_mov_b32 m0, ttmp2
.LBB2_1885:                             ; =>This Inner Loop Header: Depth=1
	s_sethalt 5
	s_branch .LBB2_1885
.LBB2_1886:
	s_trap 2
	s_sendmsg_rtn_b32 s0, sendmsg(MSG_RTN_GET_DOORBELL)
	s_mov_b32 ttmp2, m0
	s_waitcnt lgkmcnt(0)
	s_and_b32 s0, s0, 0x3ff
	s_delay_alu instid0(SALU_CYCLE_1) | instskip(NEXT) | instid1(SALU_CYCLE_1)
	s_bitset1_b32 s0, 10
	s_mov_b32 m0, s0
	s_sendmsg sendmsg(MSG_INTERRUPT)
	s_mov_b32 m0, ttmp2
.LBB2_1887:                             ; =>This Inner Loop Header: Depth=1
	s_sethalt 5
	s_branch .LBB2_1887
.LBB2_1888:
	s_trap 2
	s_sendmsg_rtn_b32 s0, sendmsg(MSG_RTN_GET_DOORBELL)
	s_mov_b32 ttmp2, m0
	s_waitcnt lgkmcnt(0)
	s_and_b32 s0, s0, 0x3ff
	s_delay_alu instid0(SALU_CYCLE_1) | instskip(NEXT) | instid1(SALU_CYCLE_1)
	s_bitset1_b32 s0, 10
	s_mov_b32 m0, s0
	s_sendmsg sendmsg(MSG_INTERRUPT)
	s_mov_b32 m0, ttmp2
.LBB2_1889:                             ; =>This Inner Loop Header: Depth=1
	s_sethalt 5
	s_branch .LBB2_1889
.LBB2_1890:
	s_trap 2
	s_sendmsg_rtn_b32 s0, sendmsg(MSG_RTN_GET_DOORBELL)
	s_mov_b32 ttmp2, m0
	s_waitcnt lgkmcnt(0)
	s_and_b32 s0, s0, 0x3ff
	s_delay_alu instid0(SALU_CYCLE_1) | instskip(NEXT) | instid1(SALU_CYCLE_1)
	s_bitset1_b32 s0, 10
	s_mov_b32 m0, s0
	s_sendmsg sendmsg(MSG_INTERRUPT)
	s_mov_b32 m0, ttmp2
.LBB2_1891:                             ; =>This Inner Loop Header: Depth=1
	s_sethalt 5
	s_branch .LBB2_1891
.LBB2_1892:
	s_trap 2
	s_sendmsg_rtn_b32 s0, sendmsg(MSG_RTN_GET_DOORBELL)
	s_mov_b32 ttmp2, m0
	s_waitcnt lgkmcnt(0)
	s_and_b32 s0, s0, 0x3ff
	s_delay_alu instid0(SALU_CYCLE_1) | instskip(NEXT) | instid1(SALU_CYCLE_1)
	s_bitset1_b32 s0, 10
	s_mov_b32 m0, s0
	s_sendmsg sendmsg(MSG_INTERRUPT)
	s_mov_b32 m0, ttmp2
.LBB2_1893:                             ; =>This Inner Loop Header: Depth=1
	s_sethalt 5
	s_branch .LBB2_1893
.LBB2_1894:
	s_trap 2
	s_sendmsg_rtn_b32 s0, sendmsg(MSG_RTN_GET_DOORBELL)
	s_mov_b32 ttmp2, m0
	s_waitcnt lgkmcnt(0)
	s_and_b32 s0, s0, 0x3ff
	s_delay_alu instid0(SALU_CYCLE_1) | instskip(NEXT) | instid1(SALU_CYCLE_1)
	s_bitset1_b32 s0, 10
	s_mov_b32 m0, s0
	s_sendmsg sendmsg(MSG_INTERRUPT)
	s_mov_b32 m0, ttmp2
.LBB2_1895:                             ; =>This Inner Loop Header: Depth=1
	s_sethalt 5
	s_branch .LBB2_1895
.LBB2_1896:
	s_trap 2
	s_sendmsg_rtn_b32 s0, sendmsg(MSG_RTN_GET_DOORBELL)
	s_mov_b32 ttmp2, m0
	s_waitcnt lgkmcnt(0)
	s_and_b32 s0, s0, 0x3ff
	s_delay_alu instid0(SALU_CYCLE_1) | instskip(NEXT) | instid1(SALU_CYCLE_1)
	s_bitset1_b32 s0, 10
	s_mov_b32 m0, s0
	s_sendmsg sendmsg(MSG_INTERRUPT)
	s_mov_b32 m0, ttmp2
.LBB2_1897:                             ; =>This Inner Loop Header: Depth=1
	s_sethalt 5
	s_branch .LBB2_1897
.LBB2_1898:
	s_trap 2
	s_sendmsg_rtn_b32 s0, sendmsg(MSG_RTN_GET_DOORBELL)
	s_mov_b32 ttmp2, m0
	s_waitcnt lgkmcnt(0)
	s_and_b32 s0, s0, 0x3ff
	s_delay_alu instid0(SALU_CYCLE_1) | instskip(NEXT) | instid1(SALU_CYCLE_1)
	s_bitset1_b32 s0, 10
	s_mov_b32 m0, s0
	s_sendmsg sendmsg(MSG_INTERRUPT)
	s_mov_b32 m0, ttmp2
.LBB2_1899:                             ; =>This Inner Loop Header: Depth=1
	s_sethalt 5
	s_branch .LBB2_1899
.LBB2_1900:
	s_trap 2
	s_sendmsg_rtn_b32 s0, sendmsg(MSG_RTN_GET_DOORBELL)
	s_mov_b32 ttmp2, m0
	s_waitcnt lgkmcnt(0)
	s_and_b32 s0, s0, 0x3ff
	s_delay_alu instid0(SALU_CYCLE_1) | instskip(NEXT) | instid1(SALU_CYCLE_1)
	s_bitset1_b32 s0, 10
	s_mov_b32 m0, s0
	s_sendmsg sendmsg(MSG_INTERRUPT)
	s_mov_b32 m0, ttmp2
.LBB2_1901:                             ; =>This Inner Loop Header: Depth=1
	s_sethalt 5
	s_branch .LBB2_1901
.LBB2_1902:
	s_trap 2
	s_sendmsg_rtn_b32 s0, sendmsg(MSG_RTN_GET_DOORBELL)
	s_mov_b32 ttmp2, m0
	s_waitcnt lgkmcnt(0)
	s_and_b32 s0, s0, 0x3ff
	s_delay_alu instid0(SALU_CYCLE_1) | instskip(NEXT) | instid1(SALU_CYCLE_1)
	s_bitset1_b32 s0, 10
	s_mov_b32 m0, s0
	s_sendmsg sendmsg(MSG_INTERRUPT)
	s_mov_b32 m0, ttmp2
.LBB2_1903:                             ; =>This Inner Loop Header: Depth=1
	s_sethalt 5
	s_branch .LBB2_1903
.LBB2_1904:
	s_trap 2
	s_sendmsg_rtn_b32 s0, sendmsg(MSG_RTN_GET_DOORBELL)
	s_mov_b32 ttmp2, m0
	s_waitcnt lgkmcnt(0)
	s_and_b32 s0, s0, 0x3ff
	s_delay_alu instid0(SALU_CYCLE_1) | instskip(NEXT) | instid1(SALU_CYCLE_1)
	s_bitset1_b32 s0, 10
	s_mov_b32 m0, s0
	s_sendmsg sendmsg(MSG_INTERRUPT)
	s_mov_b32 m0, ttmp2
.LBB2_1905:                             ; =>This Inner Loop Header: Depth=1
	s_sethalt 5
	s_branch .LBB2_1905
.LBB2_1906:
	s_trap 2
	s_sendmsg_rtn_b32 s0, sendmsg(MSG_RTN_GET_DOORBELL)
	s_mov_b32 ttmp2, m0
	s_waitcnt lgkmcnt(0)
	s_and_b32 s0, s0, 0x3ff
	s_delay_alu instid0(SALU_CYCLE_1) | instskip(NEXT) | instid1(SALU_CYCLE_1)
	s_bitset1_b32 s0, 10
	s_mov_b32 m0, s0
	s_sendmsg sendmsg(MSG_INTERRUPT)
	s_mov_b32 m0, ttmp2
.LBB2_1907:                             ; =>This Inner Loop Header: Depth=1
	s_sethalt 5
	s_branch .LBB2_1907
.LBB2_1908:
	s_trap 2
	s_sendmsg_rtn_b32 s0, sendmsg(MSG_RTN_GET_DOORBELL)
	s_mov_b32 ttmp2, m0
	s_waitcnt lgkmcnt(0)
	s_and_b32 s0, s0, 0x3ff
	s_delay_alu instid0(SALU_CYCLE_1) | instskip(NEXT) | instid1(SALU_CYCLE_1)
	s_bitset1_b32 s0, 10
	s_mov_b32 m0, s0
	s_sendmsg sendmsg(MSG_INTERRUPT)
	s_mov_b32 m0, ttmp2
.LBB2_1909:                             ; =>This Inner Loop Header: Depth=1
	s_sethalt 5
	s_branch .LBB2_1909
.LBB2_1910:
	s_trap 2
	s_sendmsg_rtn_b32 s0, sendmsg(MSG_RTN_GET_DOORBELL)
	s_mov_b32 ttmp2, m0
	s_waitcnt lgkmcnt(0)
	s_and_b32 s0, s0, 0x3ff
	s_delay_alu instid0(SALU_CYCLE_1) | instskip(NEXT) | instid1(SALU_CYCLE_1)
	s_bitset1_b32 s0, 10
	s_mov_b32 m0, s0
	s_sendmsg sendmsg(MSG_INTERRUPT)
	s_mov_b32 m0, ttmp2
.LBB2_1911:                             ; =>This Inner Loop Header: Depth=1
	s_sethalt 5
	s_branch .LBB2_1911
.LBB2_1912:
	s_trap 2
	s_sendmsg_rtn_b32 s0, sendmsg(MSG_RTN_GET_DOORBELL)
	s_mov_b32 ttmp2, m0
	s_waitcnt lgkmcnt(0)
	s_and_b32 s0, s0, 0x3ff
	s_delay_alu instid0(SALU_CYCLE_1) | instskip(NEXT) | instid1(SALU_CYCLE_1)
	s_bitset1_b32 s0, 10
	s_mov_b32 m0, s0
	s_sendmsg sendmsg(MSG_INTERRUPT)
	s_mov_b32 m0, ttmp2
.LBB2_1913:                             ; =>This Inner Loop Header: Depth=1
	s_sethalt 5
	s_branch .LBB2_1913
.LBB2_1914:
	s_trap 2
	s_sendmsg_rtn_b32 s0, sendmsg(MSG_RTN_GET_DOORBELL)
	s_mov_b32 ttmp2, m0
	s_waitcnt lgkmcnt(0)
	s_and_b32 s0, s0, 0x3ff
	s_delay_alu instid0(SALU_CYCLE_1) | instskip(NEXT) | instid1(SALU_CYCLE_1)
	s_bitset1_b32 s0, 10
	s_mov_b32 m0, s0
	s_sendmsg sendmsg(MSG_INTERRUPT)
	s_mov_b32 m0, ttmp2
.LBB2_1915:                             ; =>This Inner Loop Header: Depth=1
	s_sethalt 5
	s_branch .LBB2_1915
.LBB2_1916:
	s_trap 2
	s_sendmsg_rtn_b32 s0, sendmsg(MSG_RTN_GET_DOORBELL)
	s_mov_b32 ttmp2, m0
	s_waitcnt lgkmcnt(0)
	s_and_b32 s0, s0, 0x3ff
	s_delay_alu instid0(SALU_CYCLE_1) | instskip(NEXT) | instid1(SALU_CYCLE_1)
	s_bitset1_b32 s0, 10
	s_mov_b32 m0, s0
	s_sendmsg sendmsg(MSG_INTERRUPT)
	s_mov_b32 m0, ttmp2
.LBB2_1917:                             ; =>This Inner Loop Header: Depth=1
	s_sethalt 5
	s_branch .LBB2_1917
.LBB2_1918:
	s_trap 2
	s_sendmsg_rtn_b32 s0, sendmsg(MSG_RTN_GET_DOORBELL)
	s_mov_b32 ttmp2, m0
	s_waitcnt lgkmcnt(0)
	s_and_b32 s0, s0, 0x3ff
	s_delay_alu instid0(SALU_CYCLE_1) | instskip(NEXT) | instid1(SALU_CYCLE_1)
	s_bitset1_b32 s0, 10
	s_mov_b32 m0, s0
	s_sendmsg sendmsg(MSG_INTERRUPT)
	s_mov_b32 m0, ttmp2
.LBB2_1919:                             ; =>This Inner Loop Header: Depth=1
	s_sethalt 5
	s_branch .LBB2_1919
.LBB2_1920:
	s_trap 2
	s_sendmsg_rtn_b32 s0, sendmsg(MSG_RTN_GET_DOORBELL)
	s_mov_b32 ttmp2, m0
	s_waitcnt lgkmcnt(0)
	s_and_b32 s0, s0, 0x3ff
	s_delay_alu instid0(SALU_CYCLE_1) | instskip(NEXT) | instid1(SALU_CYCLE_1)
	s_bitset1_b32 s0, 10
	s_mov_b32 m0, s0
	s_sendmsg sendmsg(MSG_INTERRUPT)
	s_mov_b32 m0, ttmp2
.LBB2_1921:                             ; =>This Inner Loop Header: Depth=1
	s_sethalt 5
	s_branch .LBB2_1921
.LBB2_1922:
	s_trap 2
	s_sendmsg_rtn_b32 s0, sendmsg(MSG_RTN_GET_DOORBELL)
	s_mov_b32 ttmp2, m0
	s_waitcnt lgkmcnt(0)
	s_and_b32 s0, s0, 0x3ff
	s_delay_alu instid0(SALU_CYCLE_1) | instskip(NEXT) | instid1(SALU_CYCLE_1)
	s_bitset1_b32 s0, 10
	s_mov_b32 m0, s0
	s_sendmsg sendmsg(MSG_INTERRUPT)
	s_mov_b32 m0, ttmp2
.LBB2_1923:                             ; =>This Inner Loop Header: Depth=1
	s_sethalt 5
	s_branch .LBB2_1923
.LBB2_1924:
	s_trap 2
	s_sendmsg_rtn_b32 s0, sendmsg(MSG_RTN_GET_DOORBELL)
	s_mov_b32 ttmp2, m0
	s_waitcnt lgkmcnt(0)
	s_and_b32 s0, s0, 0x3ff
	s_delay_alu instid0(SALU_CYCLE_1) | instskip(NEXT) | instid1(SALU_CYCLE_1)
	s_bitset1_b32 s0, 10
	s_mov_b32 m0, s0
	s_sendmsg sendmsg(MSG_INTERRUPT)
	s_mov_b32 m0, ttmp2
.LBB2_1925:                             ; =>This Inner Loop Header: Depth=1
	s_sethalt 5
	s_branch .LBB2_1925
.LBB2_1926:
	s_trap 2
	s_sendmsg_rtn_b32 s0, sendmsg(MSG_RTN_GET_DOORBELL)
	s_mov_b32 ttmp2, m0
	s_waitcnt lgkmcnt(0)
	s_and_b32 s0, s0, 0x3ff
	s_delay_alu instid0(SALU_CYCLE_1) | instskip(NEXT) | instid1(SALU_CYCLE_1)
	s_bitset1_b32 s0, 10
	s_mov_b32 m0, s0
	s_sendmsg sendmsg(MSG_INTERRUPT)
	s_mov_b32 m0, ttmp2
.LBB2_1927:                             ; =>This Inner Loop Header: Depth=1
	s_sethalt 5
	s_branch .LBB2_1927
.LBB2_1928:
	s_trap 2
	s_sendmsg_rtn_b32 s0, sendmsg(MSG_RTN_GET_DOORBELL)
	s_mov_b32 ttmp2, m0
	s_waitcnt lgkmcnt(0)
	s_and_b32 s0, s0, 0x3ff
	s_delay_alu instid0(SALU_CYCLE_1) | instskip(NEXT) | instid1(SALU_CYCLE_1)
	s_bitset1_b32 s0, 10
	s_mov_b32 m0, s0
	s_sendmsg sendmsg(MSG_INTERRUPT)
	s_mov_b32 m0, ttmp2
.LBB2_1929:                             ; =>This Inner Loop Header: Depth=1
	s_sethalt 5
	s_branch .LBB2_1929
.LBB2_1930:
	s_trap 2
	s_sendmsg_rtn_b32 s0, sendmsg(MSG_RTN_GET_DOORBELL)
	s_mov_b32 ttmp2, m0
	s_waitcnt lgkmcnt(0)
	s_and_b32 s0, s0, 0x3ff
	s_delay_alu instid0(SALU_CYCLE_1) | instskip(NEXT) | instid1(SALU_CYCLE_1)
	s_bitset1_b32 s0, 10
	s_mov_b32 m0, s0
	s_sendmsg sendmsg(MSG_INTERRUPT)
	s_mov_b32 m0, ttmp2
.LBB2_1931:                             ; =>This Inner Loop Header: Depth=1
	s_sethalt 5
	s_branch .LBB2_1931
.LBB2_1932:
	s_trap 2
	s_sendmsg_rtn_b32 s0, sendmsg(MSG_RTN_GET_DOORBELL)
	s_mov_b32 ttmp2, m0
	s_waitcnt lgkmcnt(0)
	s_and_b32 s0, s0, 0x3ff
	s_delay_alu instid0(SALU_CYCLE_1) | instskip(NEXT) | instid1(SALU_CYCLE_1)
	s_bitset1_b32 s0, 10
	s_mov_b32 m0, s0
	s_sendmsg sendmsg(MSG_INTERRUPT)
	s_mov_b32 m0, ttmp2
.LBB2_1933:                             ; =>This Inner Loop Header: Depth=1
	s_sethalt 5
	s_branch .LBB2_1933
.LBB2_1934:
	s_trap 2
	s_sendmsg_rtn_b32 s0, sendmsg(MSG_RTN_GET_DOORBELL)
	s_mov_b32 ttmp2, m0
	s_waitcnt lgkmcnt(0)
	s_and_b32 s0, s0, 0x3ff
	s_delay_alu instid0(SALU_CYCLE_1) | instskip(NEXT) | instid1(SALU_CYCLE_1)
	s_bitset1_b32 s0, 10
	s_mov_b32 m0, s0
	s_sendmsg sendmsg(MSG_INTERRUPT)
	s_mov_b32 m0, ttmp2
.LBB2_1935:                             ; =>This Inner Loop Header: Depth=1
	s_sethalt 5
	s_branch .LBB2_1935
.LBB2_1936:
	s_trap 2
	s_sendmsg_rtn_b32 s0, sendmsg(MSG_RTN_GET_DOORBELL)
	s_mov_b32 ttmp2, m0
	s_waitcnt lgkmcnt(0)
	s_and_b32 s0, s0, 0x3ff
	s_delay_alu instid0(SALU_CYCLE_1) | instskip(NEXT) | instid1(SALU_CYCLE_1)
	s_bitset1_b32 s0, 10
	s_mov_b32 m0, s0
	s_sendmsg sendmsg(MSG_INTERRUPT)
	s_mov_b32 m0, ttmp2
.LBB2_1937:                             ; =>This Inner Loop Header: Depth=1
	s_sethalt 5
	s_branch .LBB2_1937
.LBB2_1938:
	s_trap 2
	s_sendmsg_rtn_b32 s0, sendmsg(MSG_RTN_GET_DOORBELL)
	s_mov_b32 ttmp2, m0
	s_waitcnt lgkmcnt(0)
	s_and_b32 s0, s0, 0x3ff
	s_delay_alu instid0(SALU_CYCLE_1) | instskip(NEXT) | instid1(SALU_CYCLE_1)
	s_bitset1_b32 s0, 10
	s_mov_b32 m0, s0
	s_sendmsg sendmsg(MSG_INTERRUPT)
	s_mov_b32 m0, ttmp2
.LBB2_1939:                             ; =>This Inner Loop Header: Depth=1
	s_sethalt 5
	s_branch .LBB2_1939
.LBB2_1940:
	s_trap 2
	s_sendmsg_rtn_b32 s0, sendmsg(MSG_RTN_GET_DOORBELL)
	s_mov_b32 ttmp2, m0
	s_waitcnt lgkmcnt(0)
	s_and_b32 s0, s0, 0x3ff
	s_delay_alu instid0(SALU_CYCLE_1) | instskip(NEXT) | instid1(SALU_CYCLE_1)
	s_bitset1_b32 s0, 10
	s_mov_b32 m0, s0
	s_sendmsg sendmsg(MSG_INTERRUPT)
	s_mov_b32 m0, ttmp2
.LBB2_1941:                             ; =>This Inner Loop Header: Depth=1
	s_sethalt 5
	s_branch .LBB2_1941
.LBB2_1942:
	s_trap 2
	s_sendmsg_rtn_b32 s0, sendmsg(MSG_RTN_GET_DOORBELL)
	s_mov_b32 ttmp2, m0
	s_waitcnt lgkmcnt(0)
	s_and_b32 s0, s0, 0x3ff
	s_delay_alu instid0(SALU_CYCLE_1) | instskip(NEXT) | instid1(SALU_CYCLE_1)
	s_bitset1_b32 s0, 10
	s_mov_b32 m0, s0
	s_sendmsg sendmsg(MSG_INTERRUPT)
	s_mov_b32 m0, ttmp2
.LBB2_1943:                             ; =>This Inner Loop Header: Depth=1
	s_sethalt 5
	s_branch .LBB2_1943
.Lfunc_end2:
	.size	_ZN12_GLOBAL__N_17runRingIh14FuncSumPostDivIhE11ProtoSimpleILi2ELi2ELi0ELi1ELi0ELi0EELi0ELi0ELi1ELi0EEEviiP15ncclDevWorkColl, .Lfunc_end2-_ZN12_GLOBAL__N_17runRingIh14FuncSumPostDivIhE11ProtoSimpleILi2ELi2ELi0ELi1ELi0ELi0EELi0ELi0ELi1ELi0EEEviiP15ncclDevWorkColl
                                        ; -- End function
	.section	.AMDGPU.csdata,"",@progbits
; Function info:
; codeLenInByte = 67484
; NumSgprs: 48
; NumVgprs: 184
; ScratchSize: 160
; MemoryBound: 1
	.text
	.p2align	2                               ; -- Begin function _Z53ncclDevFunc_AllReduce_RING_SIMPLE_SumPostDiv_u8_0_0_1v
	.type	_Z53ncclDevFunc_AllReduce_RING_SIMPLE_SumPostDiv_u8_0_0_1v,@function
_Z53ncclDevFunc_AllReduce_RING_SIMPLE_SumPostDiv_u8_0_0_1v: ; @_Z53ncclDevFunc_AllReduce_RING_SIMPLE_SumPostDiv_u8_0_0_1v
; %bb.0:
	s_waitcnt vmcnt(0) expcnt(0) lgkmcnt(0)
	s_mov_b32 s0, s33
	s_mov_b32 s33, s32
	s_or_saveexec_b32 s1, -1
	scratch_store_b32 off, v42, s33 offset:16 ; 4-byte Folded Spill
	s_mov_b32 exec_lo, s1
	v_writelane_b32 v42, s0, 20
	s_add_i32 s32, s32, 32
	s_clause 0x3
	scratch_store_b32 off, v40, s33 offset:12
	; meta instruction
	scratch_store_b32 off, v41, s33 offset:8
	; meta instruction
	;; [unrolled: 2-line block ×3, first 2 shown]
	scratch_store_b32 off, v78, s33
	v_writelane_b32 v42, s34, 0
	v_writelane_b32 v42, s35, 1
	;; [unrolled: 1-line block ×20, first 2 shown]
	s_cbranch_execnz .LBB3_7
; %bb.1:
	ds_load_b32 v0, v0
	v_and_b32_e32 v40, 0x3ff, v31
	s_mov_b32 s0, exec_lo
	s_waitcnt lgkmcnt(0)
	s_delay_alu instid0(VALU_DEP_1)
	v_cmpx_lt_i32_e64 v40, v0
	s_cbranch_execz .LBB3_9
; %bb.2:
	s_load_b32 s1, s[8:9], 0x0
	v_mov_b32_e32 v1, 0
	s_waitcnt lgkmcnt(0)
	s_cmp_lt_u32 s12, s1
	s_cselect_b32 s1, 12, 18
	s_delay_alu instid0(SALU_CYCLE_1)
	s_add_u32 s2, s8, s1
	s_addc_u32 s3, s9, 0
	s_mov_b32 s1, 0
	global_load_u16 v1, v1, s[2:3]
	s_cbranch_execnz .LBB3_24
; %bb.3:
	ds_load_b32 v2, v0
	v_mov_b32_e32 v3, v40
                                        ; implicit-def: $vgpr4
	s_waitcnt vmcnt(0) lgkmcnt(0)
	v_mul_lo_u32 v2, v2, v1
	s_branch .LBB3_5
	.p2align	6
.LBB3_4:                                ;   in Loop: Header=BB3_5 Depth=1
	s_or_b32 exec_lo, exec_lo, s2
	v_add_nc_u32_e32 v3, v3, v1
	v_add_nc_u32_e32 v4, v4, v2
	s_delay_alu instid0(VALU_DEP_2) | instskip(SKIP_1) | instid1(SALU_CYCLE_1)
	v_cmp_ge_i32_e32 vcc_lo, v3, v0
	s_or_b32 s1, vcc_lo, s1
	s_and_not1_b32 exec_lo, exec_lo, s1
	s_cbranch_execz .LBB3_9
.LBB3_5:                                ; =>This Inner Loop Header: Depth=1
	ds_load_b32 v5, v4
	s_mov_b32 s2, exec_lo
	s_waitcnt lgkmcnt(0)
	v_and_b32_e32 v5, 0x1000000, v5
	s_delay_alu instid0(VALU_DEP_1)
	v_cmpx_ne_u32_e32 0, v5
	s_cbranch_execz .LBB3_4
; %bb.6:                                ;   in Loop: Header=BB3_5 Depth=1
	ds_load_b64 v[5:6], v4 offset:104
	s_waitcnt lgkmcnt(0)
	flat_load_b64 v[5:6], v[5:6]
	s_waitcnt vmcnt(0) lgkmcnt(0)
	ds_store_b64 v4, v[5:6] offset:104
	s_branch .LBB3_4
.LBB3_7:
	s_trap 2
	s_sendmsg_rtn_b32 s0, sendmsg(MSG_RTN_GET_DOORBELL)
	s_mov_b32 ttmp2, m0
	s_waitcnt lgkmcnt(0)
	s_and_b32 s0, s0, 0x3ff
	s_delay_alu instid0(SALU_CYCLE_1) | instskip(NEXT) | instid1(SALU_CYCLE_1)
	s_bitset1_b32 s0, 10
	s_mov_b32 m0, s0
	s_sendmsg sendmsg(MSG_INTERRUPT)
	s_mov_b32 m0, ttmp2
.LBB3_8:                                ; =>This Inner Loop Header: Depth=1
	s_sethalt 5
	s_branch .LBB3_8
.LBB3_9:
	s_or_b32 exec_lo, exec_lo, s0
	s_waitcnt lgkmcnt(0)
	s_waitcnt_vscnt null, 0x0
	s_barrier
	buffer_gl0_inv
	s_cbranch_execnz .LBB3_22
; %bb.10:
	ds_load_b32 v0, v0
	s_waitcnt lgkmcnt(0)
	v_cmp_gt_i32_e32 vcc_lo, 1, v0
	s_cbranch_vccnz .LBB3_21
; %bb.11:
	s_mov_b32 s50, 0
	s_mov_b64 s[48:49], src_shared_base
.LBB3_12:                               ; =>This Inner Loop Header: Depth=1
	s_cbranch_execnz .LBB3_26
; %bb.13:                               ;   in Loop: Header=BB3_12 Depth=1
	ds_load_b32 v0, v0
	s_cmp_eq_u32 s50, 0
	s_cbranch_scc1 .LBB3_17
; %bb.14:                               ;   in Loop: Header=BB3_12 Depth=1
	s_cbranch_execnz .LBB3_30
; %bb.15:                               ;   in Loop: Header=BB3_12 Depth=1
	s_waitcnt lgkmcnt(0)
	ds_load_b32 v1, v0
	s_waitcnt lgkmcnt(0)
	v_xor_b32_e32 v1, v1, v0
	s_delay_alu instid0(VALU_DEP_1) | instskip(NEXT) | instid1(VALU_DEP_1)
	v_and_b32_e32 v1, 0xff0000, v1
	v_cmp_eq_u32_e32 vcc_lo, 0, v1
	s_cbranch_vccnz .LBB3_17
; %bb.16:                               ;   in Loop: Header=BB3_12 Depth=1
	s_waitcnt_vscnt null, 0x0
	s_barrier
	buffer_gl0_inv
	ds_load_b32 v0, v0
.LBB3_17:                               ;   in Loop: Header=BB3_12 Depth=1
	s_waitcnt lgkmcnt(0)
	v_lshrrev_b32_e32 v0, 11, v0
	s_mov_b32 s51, exec_lo
	s_delay_alu instid0(VALU_DEP_1) | instskip(NEXT) | instid1(VALU_DEP_1)
	v_and_b32_e32 v1, 0x1fe0, v0
	v_cmpx_lt_u32_e64 v40, v1
	s_cbranch_execz .LBB3_19
; %bb.18:                               ;   in Loop: Header=BB3_12 Depth=1
	v_dual_mov_b32 v41, v31 :: v_dual_mov_b32 v0, v40
	v_mov_b32_e32 v3, s49
	s_getpc_b64 s[0:1]
	s_add_u32 s0, s0, _ZN12_GLOBAL__N_17runRingIh14FuncSumPostDivIhE11ProtoSimpleILi2ELi2ELi0ELi1ELi0ELi0EELi0ELi0ELi1ELi0EEEviiP15ncclDevWorkColl@rel32@lo+4
	s_addc_u32 s1, s1, _ZN12_GLOBAL__N_17runRingIh14FuncSumPostDivIhE11ProtoSimpleILi2ELi2ELi0ELi1ELi0ELi0EELi0ELi0ELi1ELi0EEEviiP15ncclDevWorkColl@rel32@hi+12
	s_mov_b64 s[46:47], s[8:9]
	s_mov_b32 s48, s12
	s_swappc_b64 s[30:31], s[0:1]
	v_mov_b32_e32 v31, v41
	s_mov_b32 s12, s48
	s_mov_b64 s[8:9], s[46:47]
.LBB3_19:                               ;   in Loop: Header=BB3_12 Depth=1
	s_or_b32 exec_lo, exec_lo, s51
	s_cbranch_execnz .LBB3_28
; %bb.20:                               ;   in Loop: Header=BB3_12 Depth=1
	ds_load_b32 v0, v0
	s_add_i32 s50, s50, 1
	s_waitcnt lgkmcnt(0)
	v_cmp_lt_i32_e32 vcc_lo, s50, v0
	s_cbranch_vccnz .LBB3_12
.LBB3_21:
	s_clause 0x3
	scratch_load_b32 v78, off, s33
	scratch_load_b32 v77, off, s33 offset:4
	scratch_load_b32 v41, off, s33 offset:8
	;; [unrolled: 1-line block ×3, first 2 shown]
	v_readlane_b32 s30, v42, 18
	v_readlane_b32 s31, v42, 19
	;; [unrolled: 1-line block ×21, first 2 shown]
	s_or_saveexec_b32 s1, -1
	scratch_load_b32 v42, off, s33 offset:16 ; 4-byte Folded Reload
	s_mov_b32 exec_lo, s1
	s_addk_i32 s32, 0xffe0
	s_mov_b32 s33, s0
	s_waitcnt vmcnt(0)
	s_setpc_b64 s[30:31]
.LBB3_22:
	s_trap 2
	s_sendmsg_rtn_b32 s0, sendmsg(MSG_RTN_GET_DOORBELL)
	s_mov_b32 ttmp2, m0
	s_waitcnt lgkmcnt(0)
	s_and_b32 s0, s0, 0x3ff
	s_delay_alu instid0(SALU_CYCLE_1) | instskip(NEXT) | instid1(SALU_CYCLE_1)
	s_bitset1_b32 s0, 10
	s_mov_b32 m0, s0
	s_sendmsg sendmsg(MSG_INTERRUPT)
	s_mov_b32 m0, ttmp2
.LBB3_23:                               ; =>This Inner Loop Header: Depth=1
	s_sethalt 5
	s_branch .LBB3_23
.LBB3_24:
	s_trap 2
	s_sendmsg_rtn_b32 s0, sendmsg(MSG_RTN_GET_DOORBELL)
	s_mov_b32 ttmp2, m0
	s_waitcnt lgkmcnt(0)
	s_and_b32 s0, s0, 0x3ff
	s_delay_alu instid0(SALU_CYCLE_1) | instskip(NEXT) | instid1(SALU_CYCLE_1)
	s_bitset1_b32 s0, 10
	s_mov_b32 m0, s0
	s_sendmsg sendmsg(MSG_INTERRUPT)
	s_mov_b32 m0, ttmp2
.LBB3_25:                               ; =>This Inner Loop Header: Depth=1
	s_sethalt 5
	s_branch .LBB3_25
.LBB3_26:
	s_trap 2
	s_sendmsg_rtn_b32 s0, sendmsg(MSG_RTN_GET_DOORBELL)
	s_mov_b32 ttmp2, m0
	s_waitcnt lgkmcnt(0)
	s_and_b32 s0, s0, 0x3ff
	s_delay_alu instid0(SALU_CYCLE_1) | instskip(NEXT) | instid1(SALU_CYCLE_1)
	s_bitset1_b32 s0, 10
	s_mov_b32 m0, s0
	s_sendmsg sendmsg(MSG_INTERRUPT)
	s_mov_b32 m0, ttmp2
.LBB3_27:                               ; =>This Inner Loop Header: Depth=1
	s_sethalt 5
	s_branch .LBB3_27
.LBB3_28:
	s_trap 2
	s_sendmsg_rtn_b32 s0, sendmsg(MSG_RTN_GET_DOORBELL)
	s_mov_b32 ttmp2, m0
	s_waitcnt lgkmcnt(0)
	s_and_b32 s0, s0, 0x3ff
	s_delay_alu instid0(SALU_CYCLE_1) | instskip(NEXT) | instid1(SALU_CYCLE_1)
	s_bitset1_b32 s0, 10
	s_mov_b32 m0, s0
	s_sendmsg sendmsg(MSG_INTERRUPT)
	s_mov_b32 m0, ttmp2
.LBB3_29:                               ; =>This Inner Loop Header: Depth=1
	s_sethalt 5
	s_branch .LBB3_29
.LBB3_30:
	s_trap 2
	s_sendmsg_rtn_b32 s0, sendmsg(MSG_RTN_GET_DOORBELL)
	s_mov_b32 ttmp2, m0
	s_waitcnt lgkmcnt(0)
	s_and_b32 s0, s0, 0x3ff
	s_delay_alu instid0(SALU_CYCLE_1) | instskip(NEXT) | instid1(SALU_CYCLE_1)
	s_bitset1_b32 s0, 10
	s_mov_b32 m0, s0
	s_sendmsg sendmsg(MSG_INTERRUPT)
	s_mov_b32 m0, ttmp2
.LBB3_31:                               ; =>This Inner Loop Header: Depth=1
	s_sethalt 5
	s_branch .LBB3_31
.Lfunc_end3:
	.size	_Z53ncclDevFunc_AllReduce_RING_SIMPLE_SumPostDiv_u8_0_0_1v, .Lfunc_end3-_Z53ncclDevFunc_AllReduce_RING_SIMPLE_SumPostDiv_u8_0_0_1v
                                        ; -- End function
	.section	.AMDGPU.csdata,"",@progbits
; Function info:
; codeLenInByte = 1280
; NumSgprs: 54
; NumVgprs: 184
; ScratchSize: 192
; MemoryBound: 0
	.text
	.p2align	2                               ; -- Begin function _ZN12_GLOBAL__N_17runRingIh14FuncSumPostDivIhE11ProtoSimpleILi2ELi2ELi0ELi2ELi0ELi0EELi0ELi0ELi2ELi0EEEviiP15ncclDevWorkColl
	.type	_ZN12_GLOBAL__N_17runRingIh14FuncSumPostDivIhE11ProtoSimpleILi2ELi2ELi0ELi2ELi0ELi0EELi0ELi0ELi2ELi0EEEviiP15ncclDevWorkColl,@function
_ZN12_GLOBAL__N_17runRingIh14FuncSumPostDivIhE11ProtoSimpleILi2ELi2ELi0ELi2ELi0ELi0EELi0ELi0ELi2ELi0EEEviiP15ncclDevWorkColl: ; @_ZN12_GLOBAL__N_17runRingIh14FuncSumPostDivIhE11ProtoSimpleILi2ELi2ELi0ELi2ELi0ELi0EELi0ELi0ELi2ELi0EEEviiP15ncclDevWorkColl
; %bb.0:
	s_waitcnt vmcnt(0) expcnt(0) lgkmcnt(0)
	s_mov_b32 s0, s33
	s_mov_b32 s33, s32
	s_or_saveexec_b32 s1, -1
	s_clause 0x1
	scratch_store_b32 off, v159, s33 offset:252
	; meta instruction
	scratch_store_b32 off, v168, s33 offset:256
	s_mov_b32 exec_lo, s1
	v_writelane_b32 v159, s0, 22
	s_addk_i32 s32, 0x110
	s_clause 0x1f
	scratch_store_b32 off, v40, s33 offset:248
	; meta instruction
	scratch_store_b32 off, v41, s33 offset:244
	; meta instruction
	;; [unrolled: 2-line block ×31, first 2 shown]
	scratch_store_b32 off, v95, s33 offset:124
	s_clause 0x1e
	scratch_store_b32 off, v104, s33 offset:120
	; meta instruction
	scratch_store_b32 off, v105, s33 offset:116
	; meta instruction
	scratch_store_b32 off, v106, s33 offset:112
	; meta instruction
	scratch_store_b32 off, v107, s33 offset:108
	; meta instruction
	scratch_store_b32 off, v108, s33 offset:104
	; meta instruction
	scratch_store_b32 off, v109, s33 offset:100
	; meta instruction
	scratch_store_b32 off, v110, s33 offset:96
	; meta instruction
	scratch_store_b32 off, v111, s33 offset:92
	; meta instruction
	scratch_store_b32 off, v120, s33 offset:88
	; meta instruction
	scratch_store_b32 off, v121, s33 offset:84
	; meta instruction
	scratch_store_b32 off, v122, s33 offset:80
	; meta instruction
	scratch_store_b32 off, v123, s33 offset:76
	; meta instruction
	scratch_store_b32 off, v124, s33 offset:72
	; meta instruction
	scratch_store_b32 off, v125, s33 offset:68
	; meta instruction
	scratch_store_b32 off, v126, s33 offset:64
	; meta instruction
	scratch_store_b32 off, v127, s33 offset:60
	; meta instruction
	scratch_store_b32 off, v136, s33 offset:56
	; meta instruction
	scratch_store_b32 off, v137, s33 offset:52
	; meta instruction
	scratch_store_b32 off, v138, s33 offset:48
	; meta instruction
	scratch_store_b32 off, v139, s33 offset:44
	; meta instruction
	scratch_store_b32 off, v140, s33 offset:40
	; meta instruction
	scratch_store_b32 off, v141, s33 offset:36
	; meta instruction
	scratch_store_b32 off, v142, s33 offset:32
	; meta instruction
	scratch_store_b32 off, v143, s33 offset:28
	; meta instruction
	scratch_store_b32 off, v152, s33 offset:24
	; meta instruction
	scratch_store_b32 off, v153, s33 offset:20
	; meta instruction
	scratch_store_b32 off, v154, s33 offset:16
	; meta instruction
	scratch_store_b32 off, v155, s33 offset:12
	; meta instruction
	scratch_store_b32 off, v156, s33 offset:8
	; meta instruction
	scratch_store_b32 off, v157, s33 offset:4
	; meta instruction
	scratch_store_b32 off, v158, s33
	v_writelane_b32 v159, s34, 0
	v_writelane_b32 v159, s35, 1
	;; [unrolled: 1-line block ×22, first 2 shown]
	s_cbranch_execnz .LBB4_1402
; %bb.1:
	flat_load_b32 v7, v[2:3]
	ds_load_b32 v6, v0
	s_mov_b32 s0, exec_lo
                                        ; implicit-def: $vgpr14_vgpr15
                                        ; implicit-def: $vgpr24_vgpr25
                                        ; implicit-def: $vgpr4_vgpr5
	s_waitcnt lgkmcnt(0)
	v_readfirstlane_b32 s23, v6
	s_waitcnt vmcnt(0)
	v_and_b32_e32 v8, 0xff, v7
	s_delay_alu instid0(VALU_DEP_1)
	v_cmpx_ne_u32_e64 v8, v6
	s_xor_b32 s0, exec_lo, s0
	s_cbranch_execnz .LBB4_1404
; %bb.2:
	s_and_not1_saveexec_b32 s0, s0
	s_cbranch_execnz .LBB4_1409
.LBB4_3:
	s_or_b32 exec_lo, exec_lo, s0
	s_cbranch_execnz .LBB4_1410
.LBB4_4:
	ds_load_b64 v[6:7], v0
	s_mov_b32 s1, exec_lo
	s_waitcnt lgkmcnt(0)
	v_cmp_ne_u32_e32 vcc_lo, -1, v6
	v_cndmask_b32_e64 v17, 0, 1, vcc_lo
	v_cmp_ne_u32_e32 vcc_lo, -1, v7
	s_delay_alu instid0(VALU_DEP_2) | instskip(NEXT) | instid1(VALU_DEP_1)
	v_add_co_ci_u32_e64 v8, s0, 0, v17, vcc_lo
	v_lshlrev_b32_e32 v6, 1, v8
	s_delay_alu instid0(VALU_DEP_1)
	v_cmpx_le_i32_e64 v6, v1
	s_xor_b32 s30, exec_lo, s1
	s_cbranch_execz .LBB4_1653
; %bb.5:
	s_clause 0x3
	flat_load_b64 v[15:16], v[2:3] offset:104
	flat_load_b128 v[10:13], v[2:3] offset:16
	flat_load_u16 v7, v[2:3] offset:8
	flat_load_b32 v6, v[2:3] offset:4
	s_cbranch_execnz .LBB4_1412
; %bb.6:
	s_load_b32 s0, s[8:9], 0x0
	v_dual_mov_b32 v9, 0 :: v_dual_mov_b32 v30, 4
	s_waitcnt lgkmcnt(0)
	s_cmp_lt_u32 s12, s0
	s_cselect_b32 s0, 12, 18
	s_delay_alu instid0(SALU_CYCLE_1)
	s_add_u32 s0, s8, s0
	s_addc_u32 s1, s9, 0
	global_load_u16 v18, v9, s[0:1]
	ds_load_b32 v9, v0
	s_mov_b32 s1, exec_lo
	s_waitcnt lgkmcnt(0)
	v_readfirstlane_b32 s5, v9
	v_cmpx_ge_i32_e64 v0, v17
	s_cbranch_execz .LBB4_16
; %bb.7:
	v_cmp_le_u32_e64 s0, v8, v0
                                        ; implicit-def: $vgpr30
	s_delay_alu instid0(VALU_DEP_1) | instskip(NEXT) | instid1(SALU_CYCLE_1)
	s_and_saveexec_b32 s2, s0
	s_xor_b32 s0, exec_lo, s2
	s_cbranch_execz .LBB4_13
; %bb.8:
	v_cndmask_b32_e64 v9, 0, 1, vcc_lo
	s_mov_b32 s2, exec_lo
                                        ; implicit-def: $sgpr3
	s_delay_alu instid0(VALU_DEP_1) | instskip(NEXT) | instid1(VALU_DEP_1)
	v_sub_nc_u32_e32 v9, v1, v9
	v_cmpx_ge_u32_e64 v0, v9
	s_xor_b32 s2, exec_lo, s2
; %bb.9:
	s_mov_b32 s3, 16
                                        ; implicit-def: $vgpr8
; %bb.10:
	s_or_saveexec_b32 s2, s2
	v_mov_b32_e32 v30, s3
	s_xor_b32 exec_lo, exec_lo, s2
; %bb.11:
	v_sub_nc_u32_e32 v8, v1, v8
	s_delay_alu instid0(VALU_DEP_1) | instskip(SKIP_1) | instid1(VALU_DEP_1)
	v_cmp_ge_i32_e32 vcc_lo, v0, v8
	v_cndmask_b32_e64 v8, 0, 1, vcc_lo
	v_lshlrev_b32_e32 v30, 5, v8
; %bb.12:
	s_or_b32 exec_lo, exec_lo, s2
.LBB4_13:
	s_and_not1_saveexec_b32 s0, s0
; %bb.14:
	v_mov_b32_e32 v30, 8
; %bb.15:
	s_or_b32 exec_lo, exec_lo, s0
.LBB4_16:
	s_delay_alu instid0(SALU_CYCLE_1) | instskip(NEXT) | instid1(VALU_DEP_1)
	s_or_b32 exec_lo, exec_lo, s1
	v_and_b32_e32 v8, 36, v30
	s_delay_alu instid0(VALU_DEP_1)
	v_cmp_ne_u32_e32 vcc_lo, 0, v8
	v_mov_b32_e32 v8, -1
	s_and_saveexec_b32 s0, vcc_lo
	s_cbranch_execz .LBB4_19
; %bb.17:
	s_cbranch_execnz .LBB4_1414
; %bb.18:
	ds_load_b32 v8, v0
.LBB4_19:
	s_or_b32 exec_lo, exec_lo, s0
	v_and_b32_e32 v9, 24, v30
	s_mov_b32 s1, exec_lo
	s_delay_alu instid0(VALU_DEP_1)
	v_cmpx_ne_u32_e32 0, v9
	s_cbranch_execz .LBB4_22
; %bb.20:
	s_cbranch_execnz .LBB4_1416
; %bb.21:
	s_waitcnt lgkmcnt(0)
	ds_load_b32 v8, v0
.LBB4_22:
	s_or_b32 exec_lo, exec_lo, s1
	s_waitcnt vmcnt(1)
	v_lshrrev_b64 v[6:7], 31, v[6:7]
	v_mov_b32_e32 v28, 0
	v_mov_b32_e32 v29, 0
                                        ; implicit-def: $vgpr26_vgpr27
                                        ; implicit-def: $vgpr86
                                        ; implicit-def: $vgpr34_vgpr35
                                        ; implicit-def: $vgpr36_vgpr37
                                        ; implicit-def: $vgpr50_vgpr51
                                        ; implicit-def: $vgpr32_vgpr33
	s_delay_alu instid0(VALU_DEP_2) | instskip(NEXT) | instid1(VALU_DEP_2)
	v_dual_mov_b32 v6, v28 :: v_dual_and_b32 v19, 3, v6
	v_mov_b32_e32 v7, v29
	s_and_saveexec_b32 s0, vcc_lo
	s_cbranch_execz .LBB4_35
; %bb.23:
	s_cbranch_execnz .LBB4_1418
; %bb.24:
	ds_load_b64 v[6:7], v0
	s_waitcnt lgkmcnt(1)
	v_ashrrev_i32_e32 v9, 31, v8
	s_mov_b32 s1, exec_lo
                                        ; implicit-def: $vgpr26_vgpr27
	s_delay_alu instid0(VALU_DEP_1) | instskip(SKIP_2) | instid1(VALU_DEP_2)
	v_lshlrev_b64 v[20:21], 3, v[8:9]
	v_and_b32_e32 v9, 0xffff, v19
	s_waitcnt lgkmcnt(0)
	v_add_co_u32 v6, vcc_lo, v6, v20
	s_delay_alu instid0(VALU_DEP_3)
	v_add_co_ci_u32_e32 v7, vcc_lo, v7, v21, vcc_lo
	flat_load_b64 v[6:7], v[6:7]
	s_waitcnt vmcnt(0) lgkmcnt(0)
	v_mad_u64_u32 v[20:21], null, 0xa8, v9, v[6:7]
	flat_load_b32 v6, v[20:21] offset:640
	v_add_co_u32 v28, vcc_lo, 0x1f8, v20
	v_add_co_ci_u32_e32 v29, vcc_lo, 0, v21, vcc_lo
	s_waitcnt vmcnt(0) lgkmcnt(0)
	v_cmpx_eq_u32_e32 1, v6
	s_cbranch_execz .LBB4_27
; %bb.25:
	flat_load_b64 v[26:27], v[28:29] offset:144
	s_waitcnt vmcnt(0) lgkmcnt(0)
	flat_load_b64 v[6:7], v[26:27]
	s_cbranch_execnz .LBB4_1426
; %bb.26:
	s_waitcnt vmcnt(0) lgkmcnt(0)
	ds_store_b64 v0, v[6:7]
	flat_load_b64 v[6:7], v[26:27] offset:8
	v_or_b32_e32 v30, 0x2000, v30
	s_waitcnt vmcnt(0) lgkmcnt(0)
	ds_store_b64 v0, v[6:7]
	flat_load_b64 v[6:7], v[26:27] offset:16
	s_waitcnt vmcnt(0) lgkmcnt(0)
	ds_store_b64 v0, v[6:7]
.LBB4_27:
	s_or_b32 exec_lo, exec_lo, s1
	flat_load_b64 v[6:7], v[28:29] offset:104
	v_and_b32_e32 v9, 32, v30
	s_mov_b32 s1, exec_lo
                                        ; implicit-def: $vgpr32_vgpr33
	s_waitcnt vmcnt(0) lgkmcnt(0)
	v_add_co_u32 v6, vcc_lo, v6, 3
	v_add_co_ci_u32_e32 v35, vcc_lo, 0, v7, vcc_lo
	s_delay_alu instid0(VALU_DEP_2)
	v_and_b32_e32 v34, -4, v6
	v_cmpx_ne_u32_e32 0, v9
	s_cbranch_execz .LBB4_29
; %bb.28:
	flat_load_b64 v[32:33], v[28:29] offset:56
	s_waitcnt vmcnt(0) lgkmcnt(0)
	s_waitcnt_vscnt null, 0x0
	flat_store_b64 v[32:33], v[34:35]
.LBB4_29:
	s_or_b32 exec_lo, exec_lo, s1
	v_dual_mov_b32 v6, 0 :: v_dual_and_b32 v9, 4, v30
	v_mov_b32_e32 v7, 0
	s_mov_b32 s1, exec_lo
                                        ; implicit-def: $vgpr86
                                        ; implicit-def: $vgpr36_vgpr37
                                        ; implicit-def: $vgpr50_vgpr51
	s_delay_alu instid0(VALU_DEP_2)
	v_cmpx_ne_u32_e32 0, v9
	s_cbranch_execz .LBB4_34
; %bb.30:
	v_and_b32_e32 v6, 0x800, v30
	s_mov_b32 s2, exec_lo
	s_delay_alu instid0(VALU_DEP_1)
	v_cmpx_eq_u32_e32 0, v6
	s_cbranch_execz .LBB4_33
; %bb.31:
	s_cbranch_execnz .LBB4_1428
; %bb.32:
	ds_store_b64 v0, v[28:29]
.LBB4_33:
	s_or_b32 exec_lo, exec_lo, s2
	flat_load_b64 v[32:33], v[28:29] offset:48
	v_or_b32_e32 v9, 0x100, v30
	s_waitcnt vmcnt(0) lgkmcnt(0)
	flat_load_b64 v[50:51], v[32:33] glc
	s_clause 0x2
	flat_load_b64 v[6:7], v[28:29] offset:96
	flat_load_b32 v86, v[28:29] offset:72
	flat_load_b64 v[36:37], v[28:29] offset:16
	s_waitcnt vmcnt(2) lgkmcnt(2)
	v_cmp_eq_u64_e32 vcc_lo, 0, v[6:7]
	v_cndmask_b32_e32 v30, v9, v30, vcc_lo
.LBB4_34:
	s_or_b32 exec_lo, exec_lo, s1
.LBB4_35:
	s_delay_alu instid0(SALU_CYCLE_1) | instskip(NEXT) | instid1(VALU_DEP_1)
	s_or_b32 exec_lo, exec_lo, s0
	v_and_b32_e32 v9, 24, v30
	s_mov_b32 s0, exec_lo
                                        ; implicit-def: $vgpr38_vgpr39
	s_delay_alu instid0(VALU_DEP_1)
	v_cmpx_ne_u32_e32 0, v9
	s_cbranch_execz .LBB4_45
; %bb.36:
	s_cbranch_execnz .LBB4_1420
; %bb.37:
	ds_load_b64 v[6:7], v0
	s_waitcnt lgkmcnt(1)
	v_ashrrev_i32_e32 v9, 31, v8
	s_mov_b32 s1, exec_lo
                                        ; implicit-def: $vgpr38_vgpr39
	s_delay_alu instid0(VALU_DEP_1) | instskip(SKIP_1) | instid1(VALU_DEP_1)
	v_lshlrev_b64 v[8:9], 3, v[8:9]
	s_waitcnt lgkmcnt(0)
	v_add_co_u32 v6, vcc_lo, v6, v8
	s_delay_alu instid0(VALU_DEP_2)
	v_add_co_ci_u32_e32 v7, vcc_lo, v7, v9, vcc_lo
	v_and_b32_e32 v8, 0xffff, v19
	v_or_b32_e32 v19, 0x100, v30
	flat_load_b64 v[6:7], v[6:7]
	s_waitcnt vmcnt(0) lgkmcnt(0)
	v_mad_u64_u32 v[28:29], null, 0xa8, v8, v[6:7]
	flat_load_b128 v[6:9], v[28:29] offset:96
	s_waitcnt vmcnt(0) lgkmcnt(0)
	v_cmp_eq_u64_e32 vcc_lo, 0, v[6:7]
	v_cndmask_b32_e32 v30, v19, v30, vcc_lo
	s_delay_alu instid0(VALU_DEP_1) | instskip(NEXT) | instid1(VALU_DEP_1)
	v_and_b32_e32 v19, 16, v30
	v_cmpx_ne_u32_e32 0, v19
; %bb.38:
	s_clause 0x2
	flat_load_b64 v[38:39], v[28:29] offset:120
	flat_load_b64 v[32:33], v[28:29] offset:48
	;; [unrolled: 1-line block ×3, first 2 shown]
; %bb.39:
	s_or_b32 exec_lo, exec_lo, s1
	v_and_b32_e32 v19, 8, v30
	s_mov_b32 s1, exec_lo
	s_delay_alu instid0(VALU_DEP_1)
	v_cmpx_ne_u32_e32 0, v19
	s_cbranch_execz .LBB4_44
; %bb.40:
	v_and_b32_e32 v19, 0x800, v30
	s_mov_b32 s2, exec_lo
	s_delay_alu instid0(VALU_DEP_1)
	v_cmpx_eq_u32_e32 0, v19
	s_cbranch_execz .LBB4_43
; %bb.41:
	s_cbranch_execnz .LBB4_1430
; %bb.42:
	ds_store_b64 v0, v[28:29]
.LBB4_43:
	s_or_b32 exec_lo, exec_lo, s2
	s_waitcnt vmcnt(1) lgkmcnt(1)
	flat_load_b64 v[32:33], v[28:29] offset:56
	s_waitcnt vmcnt(0) lgkmcnt(0)
	flat_load_b64 v[50:51], v[32:33] glc
	s_clause 0x1
	flat_load_b32 v86, v[28:29] offset:72
	flat_load_b64 v[36:37], v[28:29] offset:16
.LBB4_44:
	s_or_b32 exec_lo, exec_lo, s1
	v_add_co_u32 v8, vcc_lo, v8, 3
	v_add_co_ci_u32_e32 v35, vcc_lo, 0, v9, vcc_lo
	s_delay_alu instid0(VALU_DEP_2)
	v_and_b32_e32 v34, -4, v8
.LBB4_45:
	s_or_b32 exec_lo, exec_lo, s0
	v_cmp_eq_u32_e64 s0, 0, v0
	s_delay_alu instid0(VALU_DEP_1)
	s_and_saveexec_b32 s1, s0
	s_cbranch_execz .LBB4_48
; %bb.46:
	s_waitcnt lgkmcnt(0)
	flat_load_b64 v[8:9], v[2:3] offset:32
	ds_store_2addr_b64 v0, v[12:13], v[10:11] offset1:1
	s_cbranch_execnz .LBB4_1422
; %bb.47:
	s_waitcnt vmcnt(0) lgkmcnt(1)
	ds_store_b64 v0, v[8:9]
	ds_store_b64 v0, v[15:16]
.LBB4_48:
	s_or_b32 exec_lo, exec_lo, s1
	s_waitcnt vmcnt(0)
	v_dual_mov_b32 v48, 0 :: v_dual_and_b32 v87, 0xffff, v18
	v_mov_b32_e32 v49, 0
	s_mov_b32 s21, exec_lo
	v_cmpx_lt_i64_e32 0, v[4:5]
	s_cbranch_execz .LBB4_1396
; %bb.49:
	s_waitcnt lgkmcnt(0)
	flat_load_b32 v8, v[2:3] offset:4
	v_dual_mov_b32 v3, 0 :: v_dual_and_b32 v2, 31, v31
	s_ashr_i32 s37, s23, 31
	s_add_u32 s24, s23, -1
	s_addc_u32 s38, s37, -1
	s_not_b32 s2, s23
	v_cmp_ge_i32_e32 vcc_lo, v0, v1
	v_cmp_eq_u32_e64 s1, 0, v2
	s_cmp_gt_i32 s23, 0
	s_mov_b32 s36, 0
	s_cselect_b32 s6, s2, -1
	s_cbranch_execnz .LBB4_1424
; %bb.50:
	v_ashrrev_i32_e32 v9, 31, v0
	v_lshrrev_b32_e32 v97, 5, v1
	v_and_b32_e32 v2, 0x3ffffe00, v14
	s_add_i32 s31, s23, s23
	s_ashr_i32 s7, s5, 31
	v_lshrrev_b32_e32 v9, 27, v9
	v_dual_mov_b32 v134, 1 :: v_dual_lshlrev_b32 v101, 9, v97
	s_add_i32 s28, s6, s31
	s_lshr_b32 s6, s7, 25
	s_delay_alu instid0(VALU_DEP_2) | instskip(SKIP_1) | instid1(VALU_DEP_2)
	v_dual_mov_b32 v54, 0 :: v_dual_add_nc_u32 v9, v0, v9
	v_mov_b32_e32 v55, 0
	v_mov_b32_e32 v48, v54
	v_dual_mov_b32 v65, v3 :: v_dual_and_b32 v98, 0xffffffe0, v1
	s_delay_alu instid0(VALU_DEP_3) | instskip(SKIP_3) | instid1(VALU_DEP_4)
	v_dual_mov_b32 v49, v55 :: v_dual_and_b32 v10, 0xffffffe0, v9
	v_ashrrev_i32_e32 v99, 5, v9
	v_lshl_add_u32 v9, v97, 11, 0xfffff800
	v_dual_mov_b32 v64, v2 :: v_dual_add_nc_u32 v103, 0xfffffe00, v101
	v_sub_nc_u32_e32 v100, v0, v10
	s_delay_alu instid0(VALU_DEP_4) | instskip(SKIP_3) | instid1(VALU_DEP_4)
	v_lshlrev_b32_e32 v10, 11, v99
	v_subrev_nc_u32_e32 v116, 32, v98
	v_add_co_u32 v113, s7, 0x800, v9
	v_ashrrev_i32_e32 v115, 31, v103
	v_lshl_add_u32 v102, v100, 4, v10
	v_ashrrev_i32_e32 v10, 31, v9
	v_ashrrev_i32_e32 v119, 31, v116
	s_waitcnt vmcnt(0) lgkmcnt(0)
	v_and_b32_e32 v8, 1, v8
	s_add_i32 s5, s5, s6
	s_ashr_i32 s29, s28, 31
	v_add_co_ci_u32_e64 v114, s7, 0, v10, s7
	v_add_co_u32 v117, s7, 0x200, v103
	s_delay_alu instid0(VALU_DEP_1) | instskip(SKIP_1) | instid1(VALU_DEP_1)
	v_add_co_ci_u32_e64 v118, s7, 0, v115, s7
	v_add_co_u32 v128, s7, v116, 32
	v_add_co_ci_u32_e64 v129, s7, 0, v119, s7
	v_cmp_eq_u32_e64 s7, 1, v8
	v_lshlrev_b32_e32 v8, 10, v99
	s_ashr_i32 s25, s5, 7
	s_cmp_gt_i32 s23, 2
	v_mad_i64_i32 v[52:53], null, v2, s23, 0
	s_delay_alu instid0(VALU_DEP_2)
	v_sub_nc_u32_e32 v130, v102, v8
	v_lshl_add_u32 v8, v97, 10, 0xfffffc00
	s_cselect_b32 s39, -1, 0
	s_add_i32 s13, s23, 1
	s_xor_b32 s34, s7, -1
	s_cmp_le_i32 s23, s13
	v_ashrrev_i32_e32 v9, 31, v8
	s_cselect_b32 s14, s23, 0
	v_cmp_eq_u64_e64 s10, 0, v[38:39]
	s_sub_i32 s26, s13, s14
	v_add_co_u32 v132, s13, 0x400, v8
	v_cmp_ne_u64_e64 s11, 0, v[38:39]
	v_ashrrev_i32_e32 v96, 31, v86
	v_cmp_eq_u32_e64 s2, 32, v1
	v_cmp_ne_u32_e64 s3, 32, v1
	v_cmp_ne_u32_e64 s4, v87, v1
	v_cmp_gt_i32_e64 s5, 1, v100
	v_cmp_lt_i32_e64 s6, v100, v17
	v_ashrrev_i32_e32 v112, 31, v102
	v_cmp_le_i32_e64 s12, v100, v17
	v_ashrrev_i32_e32 v131, 31, v130
	v_add_co_ci_u32_e64 v133, s13, 0, v9, s13
	s_ashr_i32 vcc_hi, s26, 31
	s_add_i32 s22, s23, -2
	s_xor_b32 s27, vcc_lo, -1
	s_sub_i32 s20, 0, s23
.LBB4_51:                               ; =>This Loop Header: Depth=1
                                        ;     Child Loop BB4_59 Depth 2
                                        ;       Child Loop BB4_68 Depth 3
                                        ;       Child Loop BB4_95 Depth 3
	;; [unrolled: 1-line block ×9, first 2 shown]
                                        ;     Child Loop BB4_222 Depth 2
                                        ;       Child Loop BB4_228 Depth 3
                                        ;       Child Loop BB4_255 Depth 3
	;; [unrolled: 1-line block ×3, first 2 shown]
                                        ;     Child Loop BB4_303 Depth 2
                                        ;       Child Loop BB4_305 Depth 3
                                        ;         Child Loop BB4_314 Depth 4
                                        ;         Child Loop BB4_346 Depth 4
	;; [unrolled: 1-line block ×9, first 2 shown]
                                        ;       Child Loop BB4_473 Depth 3
                                        ;         Child Loop BB4_479 Depth 4
                                        ;         Child Loop BB4_509 Depth 4
	;; [unrolled: 1-line block ×3, first 2 shown]
                                        ;     Child Loop BB4_558 Depth 2
                                        ;       Child Loop BB4_567 Depth 3
                                        ;       Child Loop BB4_599 Depth 3
	;; [unrolled: 1-line block ×5, first 2 shown]
                                        ;         Child Loop BB4_658 Depth 4
                                        ;       Child Loop BB4_670 Depth 3
                                        ;       Child Loop BB4_676 Depth 3
                                        ;         Child Loop BB4_677 Depth 4
                                        ;       Child Loop BB4_693 Depth 3
                                        ;       Child Loop BB4_699 Depth 3
	;; [unrolled: 1-line block ×6, first 2 shown]
                                        ;     Child Loop BB4_775 Depth 2
                                        ;       Child Loop BB4_781 Depth 3
                                        ;       Child Loop BB4_813 Depth 3
	;; [unrolled: 1-line block ×3, first 2 shown]
                                        ;     Child Loop BB4_861 Depth 2
                                        ;       Child Loop BB4_863 Depth 3
                                        ;         Child Loop BB4_872 Depth 4
                                        ;         Child Loop BB4_902 Depth 4
	;; [unrolled: 1-line block ×5, first 2 shown]
                                        ;           Child Loop BB4_957 Depth 5
                                        ;         Child Loop BB4_968 Depth 4
                                        ;         Child Loop BB4_974 Depth 4
                                        ;           Child Loop BB4_975 Depth 5
                                        ;         Child Loop BB4_989 Depth 4
                                        ;         Child Loop BB4_995 Depth 4
	;; [unrolled: 1-line block ×6, first 2 shown]
                                        ;       Child Loop BB4_1070 Depth 3
                                        ;         Child Loop BB4_1076 Depth 4
                                        ;         Child Loop BB4_1106 Depth 4
	;; [unrolled: 1-line block ×3, first 2 shown]
                                        ;     Child Loop BB4_1156 Depth 2
                                        ;       Child Loop BB4_1165 Depth 3
                                        ;       Child Loop BB4_1192 Depth 3
	;; [unrolled: 1-line block ×9, first 2 shown]
                                        ;     Child Loop BB4_1317 Depth 2
                                        ;       Child Loop BB4_1323 Depth 3
                                        ;       Child Loop BB4_1350 Depth 3
	;; [unrolled: 1-line block ×3, first 2 shown]
	v_sub_co_u32 v66, vcc_lo, v4, v54
	v_sub_co_ci_u32_e32 v67, vcc_lo, v5, v55, vcc_lo
	s_mov_b32 s18, exec_lo
	s_delay_alu instid0(VALU_DEP_1)
	v_cmpx_lt_i64_e64 v[66:67], v[52:53]
	s_cbranch_execz .LBB4_57
; %bb.52:                               ;   in Loop: Header=BB4_51 Depth=1
	v_add_co_u32 v2, vcc_lo, s24, v66
	v_add_co_ci_u32_e32 v10, vcc_lo, s38, v67, vcc_lo
	v_mov_b32_e32 v8, v3
	s_delay_alu instid0(VALU_DEP_2) | instskip(NEXT) | instid1(VALU_DEP_1)
	v_or_b32_e32 v9, s37, v10
	v_cmp_ne_u64_e32 vcc_lo, 0, v[8:9]
                                        ; implicit-def: $vgpr8_vgpr9
	s_and_saveexec_b32 s13, vcc_lo
	s_delay_alu instid0(SALU_CYCLE_1)
	s_xor_b32 s19, exec_lo, s13
	s_cbranch_execz .LBB4_54
; %bb.53:                               ;   in Loop: Header=BB4_51 Depth=1
	s_add_u32 s16, s23, s37
	s_mov_b32 s14, s37
	s_mov_b32 s15, s37
	s_addc_u32 s17, s37, s37
	s_delay_alu instid0(SALU_CYCLE_1) | instskip(NEXT) | instid1(SALU_CYCLE_1)
	s_xor_b64 s[16:17], s[16:17], s[14:15]
	v_cvt_f32_u32_e32 v8, s16
	v_cvt_f32_u32_e32 v9, s17
	s_sub_u32 s13, 0, s16
	s_subb_u32 s35, 0, s17
	s_delay_alu instid0(VALU_DEP_1) | instskip(NEXT) | instid1(VALU_DEP_1)
	v_fmac_f32_e32 v8, 0x4f800000, v9
	v_rcp_f32_e32 v8, v8
	s_waitcnt_depctr 0xfff
	v_mul_f32_e32 v8, 0x5f7ffffc, v8
	s_delay_alu instid0(VALU_DEP_1) | instskip(NEXT) | instid1(VALU_DEP_1)
	v_mul_f32_e32 v9, 0x2f800000, v8
	v_trunc_f32_e32 v9, v9
	s_delay_alu instid0(VALU_DEP_1) | instskip(SKIP_1) | instid1(VALU_DEP_2)
	v_fmac_f32_e32 v8, 0xcf800000, v9
	v_cvt_u32_f32_e32 v9, v9
	v_cvt_u32_f32_e32 v8, v8
	s_delay_alu instid0(VALU_DEP_2) | instskip(NEXT) | instid1(VALU_DEP_2)
	v_mul_lo_u32 v11, s13, v9
	v_mul_hi_u32 v12, s13, v8
	v_mul_lo_u32 v13, s35, v8
	s_delay_alu instid0(VALU_DEP_2) | instskip(SKIP_1) | instid1(VALU_DEP_2)
	v_add_nc_u32_e32 v11, v12, v11
	v_mul_lo_u32 v12, s13, v8
	v_add_nc_u32_e32 v11, v11, v13
	s_delay_alu instid0(VALU_DEP_2) | instskip(NEXT) | instid1(VALU_DEP_2)
	v_mul_hi_u32 v13, v8, v12
	v_mul_lo_u32 v14, v8, v11
	v_mul_hi_u32 v15, v8, v11
	v_mul_hi_u32 v16, v9, v12
	v_mul_lo_u32 v12, v9, v12
	v_mul_hi_u32 v17, v9, v11
	v_mul_lo_u32 v11, v9, v11
	v_add_co_u32 v13, vcc_lo, v13, v14
	v_add_co_ci_u32_e32 v14, vcc_lo, 0, v15, vcc_lo
	s_delay_alu instid0(VALU_DEP_2) | instskip(NEXT) | instid1(VALU_DEP_2)
	v_add_co_u32 v12, vcc_lo, v13, v12
	v_add_co_ci_u32_e32 v12, vcc_lo, v14, v16, vcc_lo
	v_add_co_ci_u32_e32 v13, vcc_lo, 0, v17, vcc_lo
	v_ashrrev_i32_e32 v16, 31, v10
	s_delay_alu instid0(VALU_DEP_3) | instskip(NEXT) | instid1(VALU_DEP_3)
	v_add_co_u32 v11, vcc_lo, v12, v11
	v_add_co_ci_u32_e32 v12, vcc_lo, 0, v13, vcc_lo
	s_delay_alu instid0(VALU_DEP_2) | instskip(NEXT) | instid1(VALU_DEP_2)
	v_add_co_u32 v8, vcc_lo, v8, v11
	v_add_co_ci_u32_e32 v9, vcc_lo, v9, v12, vcc_lo
	s_delay_alu instid0(VALU_DEP_2) | instskip(SKIP_1) | instid1(VALU_DEP_3)
	v_mul_hi_u32 v11, s13, v8
	v_mul_lo_u32 v13, s35, v8
	v_mul_lo_u32 v12, s13, v9
	s_delay_alu instid0(VALU_DEP_1) | instskip(SKIP_1) | instid1(VALU_DEP_2)
	v_add_nc_u32_e32 v11, v11, v12
	v_mul_lo_u32 v12, s13, v8
	v_add_nc_u32_e32 v11, v11, v13
	s_delay_alu instid0(VALU_DEP_2) | instskip(NEXT) | instid1(VALU_DEP_2)
	v_mul_hi_u32 v13, v8, v12
	v_mul_lo_u32 v14, v8, v11
	v_mul_hi_u32 v15, v8, v11
	v_mul_hi_u32 v17, v9, v12
	v_mul_lo_u32 v12, v9, v12
	v_mul_hi_u32 v18, v9, v11
	v_mul_lo_u32 v11, v9, v11
	v_add_co_u32 v13, vcc_lo, v13, v14
	v_add_co_ci_u32_e32 v14, vcc_lo, 0, v15, vcc_lo
	s_delay_alu instid0(VALU_DEP_2) | instskip(NEXT) | instid1(VALU_DEP_2)
	v_add_co_u32 v12, vcc_lo, v13, v12
	v_add_co_ci_u32_e32 v12, vcc_lo, v14, v17, vcc_lo
	v_add_co_ci_u32_e32 v13, vcc_lo, 0, v18, vcc_lo
	v_add_co_u32 v2, vcc_lo, v2, v16
	v_add_co_ci_u32_e32 v10, vcc_lo, v10, v16, vcc_lo
	s_delay_alu instid0(VALU_DEP_4) | instskip(NEXT) | instid1(VALU_DEP_4)
	v_add_co_u32 v11, vcc_lo, v12, v11
	v_add_co_ci_u32_e32 v12, vcc_lo, 0, v13, vcc_lo
	s_delay_alu instid0(VALU_DEP_4) | instskip(NEXT) | instid1(VALU_DEP_3)
	v_xor_b32_e32 v2, v2, v16
	v_add_co_u32 v13, vcc_lo, v8, v11
	s_delay_alu instid0(VALU_DEP_3) | instskip(SKIP_1) | instid1(VALU_DEP_3)
	v_add_co_ci_u32_e32 v14, vcc_lo, v9, v12, vcc_lo
	v_xor_b32_e32 v15, v10, v16
	v_mul_hi_u32 v17, v2, v13
	s_delay_alu instid0(VALU_DEP_3) | instskip(NEXT) | instid1(VALU_DEP_3)
	v_mad_u64_u32 v[8:9], null, v2, v14, 0
	v_mad_u64_u32 v[10:11], null, v15, v13, 0
	;; [unrolled: 1-line block ×3, first 2 shown]
	s_delay_alu instid0(VALU_DEP_3) | instskip(NEXT) | instid1(VALU_DEP_4)
	v_add_co_u32 v8, vcc_lo, v17, v8
	v_add_co_ci_u32_e32 v9, vcc_lo, 0, v9, vcc_lo
	s_delay_alu instid0(VALU_DEP_2) | instskip(NEXT) | instid1(VALU_DEP_2)
	v_add_co_u32 v8, vcc_lo, v8, v10
	v_add_co_ci_u32_e32 v8, vcc_lo, v9, v11, vcc_lo
	v_add_co_ci_u32_e32 v9, vcc_lo, 0, v13, vcc_lo
	s_delay_alu instid0(VALU_DEP_2) | instskip(NEXT) | instid1(VALU_DEP_2)
	v_add_co_u32 v10, vcc_lo, v8, v12
	v_add_co_ci_u32_e32 v11, vcc_lo, 0, v9, vcc_lo
	s_delay_alu instid0(VALU_DEP_2) | instskip(SKIP_1) | instid1(VALU_DEP_3)
	v_mul_lo_u32 v12, s17, v10
	v_mad_u64_u32 v[8:9], null, s16, v10, 0
	v_mul_lo_u32 v13, s16, v11
	s_delay_alu instid0(VALU_DEP_2) | instskip(NEXT) | instid1(VALU_DEP_2)
	v_sub_co_u32 v2, vcc_lo, v2, v8
	v_add3_u32 v9, v9, v13, v12
	s_delay_alu instid0(VALU_DEP_1) | instskip(NEXT) | instid1(VALU_DEP_1)
	v_sub_nc_u32_e32 v12, v15, v9
	v_subrev_co_ci_u32_e64 v8, s13, s17, v12, vcc_lo
	v_add_co_u32 v12, s13, v10, 2
	s_delay_alu instid0(VALU_DEP_1) | instskip(SKIP_3) | instid1(VALU_DEP_3)
	v_add_co_ci_u32_e64 v13, s13, 0, v11, s13
	v_sub_co_u32 v14, s13, v2, s16
	v_sub_co_ci_u32_e32 v9, vcc_lo, v15, v9, vcc_lo
	v_subrev_co_ci_u32_e64 v8, s13, 0, v8, s13
	v_cmp_le_u32_e32 vcc_lo, s16, v14
	s_delay_alu instid0(VALU_DEP_3) | instskip(SKIP_1) | instid1(VALU_DEP_4)
	v_cmp_eq_u32_e64 s13, s17, v9
	v_cndmask_b32_e64 v14, 0, -1, vcc_lo
	v_cmp_le_u32_e32 vcc_lo, s17, v8
	v_cndmask_b32_e64 v15, 0, -1, vcc_lo
	v_cmp_le_u32_e32 vcc_lo, s16, v2
	;; [unrolled: 2-line block ×3, first 2 shown]
	v_cndmask_b32_e64 v17, 0, -1, vcc_lo
	v_cmp_eq_u32_e32 vcc_lo, s17, v8
	s_delay_alu instid0(VALU_DEP_2) | instskip(SKIP_3) | instid1(VALU_DEP_3)
	v_cndmask_b32_e64 v2, v17, v2, s13
	v_cndmask_b32_e32 v8, v15, v14, vcc_lo
	v_add_co_u32 v14, vcc_lo, v10, 1
	v_add_co_ci_u32_e32 v15, vcc_lo, 0, v11, vcc_lo
	v_cmp_ne_u32_e32 vcc_lo, 0, v8
	s_delay_alu instid0(VALU_DEP_2) | instskip(SKIP_2) | instid1(VALU_DEP_3)
	v_dual_cndmask_b32 v8, v15, v13 :: v_dual_cndmask_b32 v9, v14, v12
	v_cmp_ne_u32_e32 vcc_lo, 0, v2
	v_xor_b32_e32 v2, s14, v16
	v_dual_cndmask_b32 v8, v11, v8 :: v_dual_cndmask_b32 v9, v10, v9
	v_xor_b32_e32 v10, s15, v16
	s_delay_alu instid0(VALU_DEP_2) | instskip(NEXT) | instid1(VALU_DEP_2)
	v_xor_b32_e32 v9, v9, v2
	v_xor_b32_e32 v11, v8, v10
	s_delay_alu instid0(VALU_DEP_2) | instskip(NEXT) | instid1(VALU_DEP_2)
	v_sub_co_u32 v8, vcc_lo, v9, v2
	v_sub_co_ci_u32_e32 v9, vcc_lo, v11, v10, vcc_lo
                                        ; implicit-def: $vgpr2
.LBB4_54:                               ;   in Loop: Header=BB4_51 Depth=1
	s_and_not1_saveexec_b32 s13, s19
	s_cbranch_execz .LBB4_56
; %bb.55:                               ;   in Loop: Header=BB4_51 Depth=1
	v_cvt_f32_u32_e32 v8, s23
	s_delay_alu instid0(VALU_DEP_1) | instskip(SKIP_2) | instid1(VALU_DEP_1)
	v_rcp_iflag_f32_e32 v8, v8
	s_waitcnt_depctr 0xfff
	v_mul_f32_e32 v8, 0x4f7ffffe, v8
	v_cvt_u32_f32_e32 v8, v8
	s_delay_alu instid0(VALU_DEP_1) | instskip(NEXT) | instid1(VALU_DEP_1)
	v_mul_lo_u32 v9, s20, v8
	v_mul_hi_u32 v9, v8, v9
	s_delay_alu instid0(VALU_DEP_1) | instskip(NEXT) | instid1(VALU_DEP_1)
	v_add_nc_u32_e32 v8, v8, v9
	v_mul_hi_u32 v8, v2, v8
	s_delay_alu instid0(VALU_DEP_1) | instskip(NEXT) | instid1(VALU_DEP_1)
	v_mul_lo_u32 v9, v8, s23
	v_sub_nc_u32_e32 v2, v2, v9
	s_delay_alu instid0(VALU_DEP_1) | instskip(SKIP_1) | instid1(VALU_DEP_2)
	v_subrev_nc_u32_e32 v10, s23, v2
	v_cmp_le_u32_e32 vcc_lo, s23, v2
	v_dual_cndmask_b32 v2, v2, v10 :: v_dual_add_nc_u32 v9, 1, v8
	s_delay_alu instid0(VALU_DEP_1) | instskip(NEXT) | instid1(VALU_DEP_2)
	v_cndmask_b32_e32 v8, v8, v9, vcc_lo
	v_cmp_le_u32_e32 vcc_lo, s23, v2
	s_delay_alu instid0(VALU_DEP_2) | instskip(NEXT) | instid1(VALU_DEP_1)
	v_add_nc_u32_e32 v9, 1, v8
	v_cndmask_b32_e32 v2, v8, v9, vcc_lo
	s_delay_alu instid0(VALU_DEP_1)
	v_dual_mov_b32 v9, v3 :: v_dual_mov_b32 v8, v2
.LBB4_56:                               ;   in Loop: Header=BB4_51 Depth=1
	s_or_b32 exec_lo, exec_lo, s13
	s_delay_alu instid0(VALU_DEP_1) | instskip(NEXT) | instid1(VALU_DEP_2)
	v_add_co_u32 v2, vcc_lo, v8, 15
	v_add_co_ci_u32_e32 v65, vcc_lo, 0, v9, vcc_lo
	s_delay_alu instid0(VALU_DEP_2)
	v_and_b32_e32 v64, -16, v2
.LBB4_57:                               ;   in Loop: Header=BB4_51 Depth=1
	s_or_b32 exec_lo, exec_lo, s18
	s_delay_alu instid0(VALU_DEP_2) | instskip(NEXT) | instid1(VALU_DEP_2)
	v_mul_lo_u32 v2, v65, s28
	v_mul_lo_u32 v8, v64, s29
	v_mad_u64_u32 v[10:11], null, v64, s28, 0
	s_mov_b32 s16, 0
	v_mov_b32_e32 v17, 0
	s_delay_alu instid0(VALU_DEP_2) | instskip(NEXT) | instid1(VALU_DEP_3)
	v_add3_u32 v11, v11, v8, v2
	v_sub_co_u32 v8, vcc_lo, v66, v10
	s_delay_alu instid0(VALU_DEP_2) | instskip(NEXT) | instid1(VALU_DEP_1)
	v_sub_co_ci_u32_e32 v9, vcc_lo, v67, v11, vcc_lo
	v_cmp_lt_i64_e32 vcc_lo, v[64:65], v[8:9]
	v_cndmask_b32_e32 v8, v8, v64, vcc_lo
	v_add_co_u32 v135, vcc_lo, v54, v24
	v_add_co_ci_u32_e32 v144, vcc_lo, v55, v25, vcc_lo
	s_delay_alu instid0(VALU_DEP_3) | instskip(NEXT) | instid1(VALU_DEP_1)
	v_max_i32_e32 v16, 0, v8
	v_add_nc_u32_e32 v2, 31, v16
	s_delay_alu instid0(VALU_DEP_1) | instskip(NEXT) | instid1(VALU_DEP_1)
	v_lshrrev_b32_e32 v2, 1, v2
	v_and_b32_e32 v9, 0x3ffffff0, v2
	v_cmp_lt_i32_e32 vcc_lo, 0, v8
	v_mov_b32_e32 v2, 0
	s_delay_alu instid0(VALU_DEP_3) | instskip(SKIP_1) | instid1(SALU_CYCLE_1)
	v_max_i32_e32 v8, s25, v9
	s_and_b32 s13, s27, vcc_lo
	s_and_saveexec_b32 s15, s13
	s_cbranch_execz .LBB4_220
; %bb.58:                               ;   in Loop: Header=BB4_51 Depth=1
	v_mov_b32_e32 v17, 0
	s_mov_b32 s18, 1
	s_mov_b32 s17, -1
.LBB4_59:                               ;   Parent Loop BB4_51 Depth=1
                                        ; =>  This Loop Header: Depth=2
                                        ;       Child Loop BB4_68 Depth 3
                                        ;       Child Loop BB4_95 Depth 3
	;; [unrolled: 1-line block ×9, first 2 shown]
	s_and_saveexec_b32 s13, s0
	s_cbranch_execz .LBB4_62
; %bb.60:                               ;   in Loop: Header=BB4_59 Depth=2
	s_cbranch_execnz .LBB4_1447
; %bb.61:                               ;   in Loop: Header=BB4_59 Depth=2
	ds_load_b64 v[12:13], v0
	s_waitcnt lgkmcnt(0)
	v_add_co_u32 v2, vcc_lo, v12, v135
	v_add_co_ci_u32_e32 v9, vcc_lo, v13, v144, vcc_lo
	v_ashrrev_i32_e32 v13, 31, v17
	s_delay_alu instid0(VALU_DEP_3) | instskip(NEXT) | instid1(VALU_DEP_3)
	v_add_co_u32 v2, vcc_lo, v2, v10
	v_add_co_ci_u32_e32 v9, vcc_lo, v9, v11, vcc_lo
	s_delay_alu instid0(VALU_DEP_2) | instskip(NEXT) | instid1(VALU_DEP_2)
	v_add_co_u32 v12, vcc_lo, v2, v17
	v_add_co_ci_u32_e32 v13, vcc_lo, v9, v13, vcc_lo
	v_mov_b32_e32 v2, v3
	ds_store_b64 v0, v[12:13]
	ds_store_b64 v0, v[2:3]
.LBB4_62:                               ;   in Loop: Header=BB4_59 Depth=2
	s_or_b32 exec_lo, exec_lo, s13
	v_and_b32_e32 v2, 8, v30
	s_mov_b32 s14, -1
	s_mov_b32 s13, exec_lo
	s_delay_alu instid0(VALU_DEP_1)
	v_cmpx_ne_u32_e32 0, v2
	s_cbranch_execz .LBB4_76
; %bb.63:                               ;   in Loop: Header=BB4_59 Depth=2
	v_add_co_u32 v14, vcc_lo, v50, 8
	v_add_co_ci_u32_e32 v15, vcc_lo, 0, v51, vcc_lo
	v_add_co_u32 v12, vcc_lo, v34, 2
	v_add_co_ci_u32_e32 v13, vcc_lo, 0, v35, vcc_lo
	v_mov_b32_e32 v2, 1
	s_mov_b32 s14, exec_lo
	s_delay_alu instid0(VALU_DEP_2)
	v_cmpx_lt_u64_e64 v[14:15], v[12:13]
	s_cbranch_execz .LBB4_75
; %bb.64:                               ;   in Loop: Header=BB4_59 Depth=2
	v_mov_b32_e32 v2, 0
	s_mov_b32 s19, 0
                                        ; implicit-def: $sgpr35
	s_branch .LBB4_68
.LBB4_65:                               ;   in Loop: Header=BB4_68 Depth=3
	s_or_b32 exec_lo, exec_lo, s43
	v_mov_b32_e32 v9, 0
	s_or_not1_b32 s42, s42, exec_lo
.LBB4_66:                               ;   in Loop: Header=BB4_68 Depth=3
	s_or_b32 exec_lo, exec_lo, s41
	s_delay_alu instid0(VALU_DEP_1) | instskip(SKIP_2) | instid1(SALU_CYCLE_1)
	v_mov_b32_e32 v2, v9
	s_and_not1_b32 vcc_lo, s35, exec_lo
	s_and_b32 s35, s42, exec_lo
	s_or_b32 s35, vcc_lo, s35
.LBB4_67:                               ;   in Loop: Header=BB4_68 Depth=3
	s_or_b32 exec_lo, exec_lo, s40
	s_waitcnt vmcnt(0) lgkmcnt(0)
	v_add_co_u32 v14, vcc_lo, v50, 8
	v_add_co_ci_u32_e32 v15, vcc_lo, 0, v51, vcc_lo
	s_xor_b32 s40, s35, -1
	s_delay_alu instid0(VALU_DEP_1) | instskip(SKIP_1) | instid1(SALU_CYCLE_1)
	v_cmp_ge_u64_e32 vcc_lo, v[14:15], v[12:13]
	s_or_b32 vcc_lo, s40, vcc_lo
	s_and_b32 vcc_lo, exec_lo, vcc_lo
	s_delay_alu instid0(SALU_CYCLE_1) | instskip(NEXT) | instid1(SALU_CYCLE_1)
	s_or_b32 s19, vcc_lo, s19
	s_and_not1_b32 exec_lo, exec_lo, s19
	s_cbranch_execz .LBB4_74
.LBB4_68:                               ;   Parent Loop BB4_51 Depth=1
                                        ;     Parent Loop BB4_59 Depth=2
                                        ; =>    This Inner Loop Header: Depth=3
	s_sleep 1
	flat_load_b64 v[50:51], v[32:33] glc
	v_and_b32_e32 v9, 64, v30
	s_and_not1_b32 s35, s35, exec_lo
	s_mov_b32 s40, exec_lo
	s_delay_alu instid0(VALU_DEP_1)
	v_cmpx_eq_u32_e32 0, v9
	s_cbranch_execz .LBB4_67
; %bb.69:                               ;   in Loop: Header=BB4_68 Depth=3
	v_add_nc_u32_e32 v9, 1, v2
	s_mov_b32 s42, -1
	s_mov_b32 s41, exec_lo
	v_cmpx_lt_i32_e32 0x270e, v2
	s_cbranch_execz .LBB4_66
; %bb.70:                               ;   in Loop: Header=BB4_68 Depth=3
	s_cbranch_execnz .LBB4_1469
; %bb.71:                               ;   in Loop: Header=BB4_68 Depth=3
	ds_load_b64 v[14:15], v0
	s_mov_b32 s43, exec_lo
	s_waitcnt vmcnt(0) lgkmcnt(0)
	s_waitcnt_vscnt null, 0x0
	flat_load_b32 v2, v[14:15] glc
	s_waitcnt vmcnt(0) lgkmcnt(0)
	buffer_gl1_inv
	buffer_gl0_inv
	v_cmpx_ne_u32_e32 0, v2
	s_cbranch_execz .LBB4_65
; %bb.72:                               ;   in Loop: Header=BB4_68 Depth=3
	ds_store_b32 v0, v2
	s_cbranch_execnz .LBB4_1488
; %bb.73:                               ;   in Loop: Header=BB4_68 Depth=3
	v_or_b32_e32 v30, 64, v30
	s_xor_b32 s42, exec_lo, -1
	s_branch .LBB4_65
.LBB4_74:                               ;   in Loop: Header=BB4_59 Depth=2
	s_or_b32 exec_lo, exec_lo, s19
	v_and_b32_e32 v2, 8, v30
.LBB4_75:                               ;   in Loop: Header=BB4_59 Depth=2
	s_or_b32 exec_lo, exec_lo, s14
	s_delay_alu instid0(VALU_DEP_1)
	v_cmp_eq_u32_e32 vcc_lo, 0, v2
	;;#ASMSTART
	s_wakeup
	;;#ASMEND
	s_or_not1_b32 s14, vcc_lo, exec_lo
.LBB4_76:                               ;   in Loop: Header=BB4_59 Depth=2
	s_or_b32 exec_lo, exec_lo, s13
	v_sub_nc_u32_e32 v2, v16, v17
	s_xor_b32 s13, s14, -1
	s_delay_alu instid0(VALU_DEP_1)
	v_min_i32_e32 v8, v8, v2
	s_and_saveexec_b32 s14, s13
	s_cbranch_execz .LBB4_86
; %bb.77:                               ;   in Loop: Header=BB4_59 Depth=2
	v_and_b32_e32 v2, 0x100, v30
	s_mov_b32 s13, -1
                                        ; implicit-def: $vgpr12_vgpr13
	s_delay_alu instid0(VALU_DEP_1)
	v_cmp_ne_u32_e32 vcc_lo, 0, v2
	v_and_b32_e32 v2, 7, v34
	s_and_saveexec_b32 s19, vcc_lo
	s_cbranch_execz .LBB4_81
; %bb.78:                               ;   in Loop: Header=BB4_59 Depth=2
	s_delay_alu instid0(VALU_DEP_1)
	v_mad_u64_u32 v[14:15], null, v2, 24, v[6:7]
	v_ashrrev_i32_e32 v9, 31, v8
	flat_load_b32 v12, v[14:15]
	flat_store_b64 v[14:15], v[8:9] offset:8
	s_waitcnt vmcnt(0) lgkmcnt(1)
	v_cmp_ne_u32_e32 vcc_lo, 1, v12
	v_cmp_eq_u32_e64 s13, 1, v12
                                        ; implicit-def: $vgpr12_vgpr13
	s_delay_alu instid0(VALU_DEP_1)
	s_and_saveexec_b32 s35, s13
	s_cbranch_execz .LBB4_80
; %bb.79:                               ;   in Loop: Header=BB4_59 Depth=2
	flat_load_b32 v12, v[14:15] offset:4 glc
	s_waitcnt vmcnt(0) lgkmcnt(0)
	v_ashrrev_i32_e32 v13, 31, v12
.LBB4_80:                               ;   in Loop: Header=BB4_59 Depth=2
	s_or_b32 exec_lo, exec_lo, s35
	s_delay_alu instid0(SALU_CYCLE_1)
	s_or_not1_b32 s13, vcc_lo, exec_lo
.LBB4_81:                               ;   in Loop: Header=BB4_59 Depth=2
	s_or_b32 exec_lo, exec_lo, s19
	s_and_saveexec_b32 s19, s13
; %bb.82:                               ;   in Loop: Header=BB4_59 Depth=2
	v_mad_i64_i32 v[12:13], null, v2, v86, 0
; %bb.83:                               ;   in Loop: Header=BB4_59 Depth=2
	s_or_b32 exec_lo, exec_lo, s19
	s_delay_alu instid0(VALU_DEP_1) | instskip(SKIP_1) | instid1(VALU_DEP_3)
	v_add_co_u32 v12, vcc_lo, v36, v12
	v_and_b32_e32 v2, 0x2000, v30
	v_add_co_ci_u32_e32 v13, vcc_lo, v37, v13, vcc_lo
	s_mov_b32 s13, exec_lo
	ds_store_b64 v0, v[12:13] offset:784
	v_cmpx_ne_u32_e32 0, v2
	s_cbranch_execz .LBB4_85
; %bb.84:                               ;   in Loop: Header=BB4_59 Depth=2
	ds_load_b64 v[12:13], v0 offset:584
	s_waitcnt lgkmcnt(0)
	v_add_co_u32 v12, vcc_lo, v12, 1
	v_add_co_ci_u32_e32 v13, vcc_lo, 0, v13, vcc_lo
	ds_store_b64 v0, v[12:13] offset:584
.LBB4_85:                               ;   in Loop: Header=BB4_59 Depth=2
	s_or_b32 exec_lo, exec_lo, s13
	v_add_co_u32 v34, vcc_lo, v34, 2
	v_add_co_ci_u32_e32 v35, vcc_lo, 0, v35, vcc_lo
.LBB4_86:                               ;   in Loop: Header=BB4_59 Depth=2
	s_or_b32 exec_lo, exec_lo, s14
	s_and_saveexec_b32 s13, s3
	s_cbranch_execz .LBB4_108
; %bb.87:                               ;   in Loop: Header=BB4_59 Depth=2
	s_and_saveexec_b32 s14, s4
	s_delay_alu instid0(SALU_CYCLE_1)
	s_xor_b32 s14, exec_lo, s14
	s_cbranch_execz .LBB4_105
; %bb.88:                               ;   in Loop: Header=BB4_59 Depth=2
	s_and_saveexec_b32 s19, s1
	s_cbranch_execz .LBB4_104
; %bb.89:                               ;   in Loop: Header=BB4_59 Depth=2
	s_mov_b32 s40, exec_lo
	s_mov_b32 s35, exec_lo
	v_mbcnt_lo_u32_b32 v2, s40, 0
	s_waitcnt lgkmcnt(0)
	s_waitcnt_vscnt null, 0x0
	buffer_gl1_inv
	buffer_gl0_inv
	v_cmpx_eq_u32_e32 0, v2
	s_cbranch_execz .LBB4_91
; %bb.90:                               ;   in Loop: Header=BB4_59 Depth=2
	s_bcnt1_i32_b32 vcc_lo, s40
	s_delay_alu instid0(SALU_CYCLE_1)
	v_mov_b32_e32 v2, vcc_lo
	ds_add_u64 v0, v[2:3]
	s_cbranch_execnz .LBB4_1514
.LBB4_91:                               ;   in Loop: Header=BB4_59 Depth=2
	s_or_b32 exec_lo, exec_lo, s35
	s_cbranch_execnz .LBB4_1494
; %bb.92:                               ;   in Loop: Header=BB4_59 Depth=2
	ds_load_b64 v[12:13], v0
	v_add_co_u32 v48, vcc_lo, v48, v97
	v_add_co_ci_u32_e32 v49, vcc_lo, 0, v49, vcc_lo
	s_mov_b32 s35, exec_lo
	s_waitcnt lgkmcnt(0)
	s_delay_alu instid0(VALU_DEP_1)
	v_cmpx_lt_u64_e64 v[12:13], v[48:49]
	s_cbranch_execz .LBB4_103
; %bb.93:                               ;   in Loop: Header=BB4_59 Depth=2
	s_mov_b32 s40, 0
	s_mov_b32 s43, 0
                                        ; implicit-def: $sgpr41
                                        ; implicit-def: $sgpr42
	s_branch .LBB4_95
.LBB4_94:                               ;   in Loop: Header=BB4_95 Depth=3
	s_or_b32 exec_lo, exec_lo, s45
	s_delay_alu instid0(SALU_CYCLE_1) | instskip(NEXT) | instid1(SALU_CYCLE_1)
	s_and_b32 vcc_lo, exec_lo, vcc_lo
	s_or_b32 s40, vcc_lo, s40
	s_and_not1_b32 vcc_lo, s41, exec_lo
	s_and_b32 s41, s42, exec_lo
	s_delay_alu instid0(SALU_CYCLE_1)
	s_or_b32 s41, vcc_lo, s41
	s_and_not1_b32 exec_lo, exec_lo, s40
	s_cbranch_execz .LBB4_101
.LBB4_95:                               ;   Parent Loop BB4_51 Depth=1
                                        ;     Parent Loop BB4_59 Depth=2
                                        ; =>    This Inner Loop Header: Depth=3
	s_add_i32 s43, s43, 1
                                        ; implicit-def: $sgpr45
	s_delay_alu instid0(SALU_CYCLE_1) | instskip(SKIP_1) | instid1(SALU_CYCLE_1)
	s_cmpk_lg_i32 s43, 0x2710
	s_cselect_b32 s44, -1, 0
	s_and_b32 vcc_lo, exec_lo, s44
	s_cbranch_vccz .LBB4_99
.LBB4_96:                               ;   in Loop: Header=BB4_95 Depth=3
	s_and_not1_b32 s42, s42, exec_lo
	s_and_b32 s45, s45, exec_lo
	s_mov_b32 vcc_lo, -1
	s_or_b32 s42, s42, s45
	s_and_saveexec_b32 s45, s44
	s_cbranch_execz .LBB4_94
; %bb.97:                               ;   in Loop: Header=BB4_95 Depth=3
	s_sleep 1
	s_cbranch_execnz .LBB4_1542
; %bb.98:                               ;   in Loop: Header=BB4_95 Depth=3
	ds_load_b64 v[12:13], v0
	s_and_not1_b32 s42, s42, exec_lo
	s_waitcnt lgkmcnt(0)
	v_cmp_ge_u64_e32 vcc_lo, v[12:13], v[48:49]
	s_or_not1_b32 vcc_lo, vcc_lo, exec_lo
	s_branch .LBB4_94
.LBB4_99:                               ;   in Loop: Header=BB4_95 Depth=3
	s_cbranch_execnz .LBB4_1548
; %bb.100:                              ;   in Loop: Header=BB4_95 Depth=3
	ds_load_b64 v[12:13], v0
	s_and_not1_b32 s44, s44, exec_lo
	s_mov_b32 s43, 0
	s_mov_b32 s45, -1
	s_waitcnt lgkmcnt(0)
	flat_load_b32 v2, v[12:13] glc
	s_waitcnt vmcnt(0) lgkmcnt(0)
	buffer_gl1_inv
	buffer_gl0_inv
	v_cmp_eq_u32_e32 vcc_lo, 0, v2
	s_and_b32 vcc_lo, vcc_lo, exec_lo
	s_delay_alu instid0(SALU_CYCLE_1)
	s_or_b32 s44, s44, vcc_lo
	s_branch .LBB4_96
.LBB4_101:                              ;   in Loop: Header=BB4_59 Depth=2
	s_or_b32 exec_lo, exec_lo, s40
	s_and_saveexec_b32 vcc_lo, s41
	s_delay_alu instid0(SALU_CYCLE_1)
	s_xor_b32 vcc_lo, exec_lo, vcc_lo
	s_cbranch_execz .LBB4_103
; %bb.102:                              ;   in Loop: Header=BB4_59 Depth=2
	ds_store_b32 v0, v134
	s_cbranch_execnz .LBB4_1762
.LBB4_103:                              ;   in Loop: Header=BB4_59 Depth=2
	s_or_b32 exec_lo, exec_lo, s35
	;;#ASMSTART
	s_wakeup
	;;#ASMEND
.LBB4_104:                              ;   in Loop: Header=BB4_59 Depth=2
	s_or_b32 exec_lo, exec_lo, s19
.LBB4_105:                              ;   in Loop: Header=BB4_59 Depth=2
	s_and_not1_saveexec_b32 s14, s14
	s_cbranch_execz .LBB4_107
; %bb.106:                              ;   in Loop: Header=BB4_59 Depth=2
	s_waitcnt lgkmcnt(0)
	s_waitcnt_vscnt null, 0x0
	buffer_gl1_inv
	buffer_gl0_inv
	s_barrier
.LBB4_107:                              ;   in Loop: Header=BB4_59 Depth=2
	s_or_b32 exec_lo, exec_lo, s14
.LBB4_108:                              ;   in Loop: Header=BB4_59 Depth=2
	s_delay_alu instid0(SALU_CYCLE_1)
	s_or_b32 exec_lo, exec_lo, s13
	s_cbranch_execnz .LBB4_1445
; %bb.109:                              ;   in Loop: Header=BB4_59 Depth=2
	ds_load_b32 v12, v0
	v_and_b32_e32 v2, 0x4000, v30
	s_xor_b32 s13, s2, -1
	s_delay_alu instid0(VALU_DEP_1) | instskip(SKIP_1) | instid1(SALU_CYCLE_1)
	v_cmp_ne_u32_e32 vcc_lo, 0, v2
	s_and_b32 s14, s13, vcc_lo
	s_and_saveexec_b32 s13, s14
	s_cbranch_execz .LBB4_131
; %bb.110:                              ;   in Loop: Header=BB4_59 Depth=2
	s_and_saveexec_b32 s14, s4
	s_delay_alu instid0(SALU_CYCLE_1)
	s_xor_b32 s14, exec_lo, s14
	s_cbranch_execz .LBB4_128
; %bb.111:                              ;   in Loop: Header=BB4_59 Depth=2
	s_and_saveexec_b32 s19, s1
	s_cbranch_execz .LBB4_127
; %bb.112:                              ;   in Loop: Header=BB4_59 Depth=2
	s_mov_b32 s40, exec_lo
	s_mov_b32 s35, exec_lo
	v_mbcnt_lo_u32_b32 v2, s40, 0
	s_waitcnt lgkmcnt(0)
	s_waitcnt_vscnt null, 0x0
	buffer_gl1_inv
	buffer_gl0_inv
	v_cmpx_eq_u32_e32 0, v2
	s_cbranch_execz .LBB4_114
; %bb.113:                              ;   in Loop: Header=BB4_59 Depth=2
	s_bcnt1_i32_b32 vcc_lo, s40
	s_delay_alu instid0(SALU_CYCLE_1)
	v_mov_b32_e32 v2, vcc_lo
	ds_add_u64 v0, v[2:3]
	s_cbranch_execnz .LBB4_1540
.LBB4_114:                              ;   in Loop: Header=BB4_59 Depth=2
	s_or_b32 exec_lo, exec_lo, s35
	s_cbranch_execnz .LBB4_1528
; %bb.115:                              ;   in Loop: Header=BB4_59 Depth=2
	ds_load_b64 v[13:14], v0
	v_add_co_u32 v48, vcc_lo, v48, v97
	v_add_co_ci_u32_e32 v49, vcc_lo, 0, v49, vcc_lo
	s_mov_b32 s35, exec_lo
	s_waitcnt lgkmcnt(0)
	s_delay_alu instid0(VALU_DEP_1)
	v_cmpx_lt_u64_e64 v[13:14], v[48:49]
	s_cbranch_execz .LBB4_126
; %bb.116:                              ;   in Loop: Header=BB4_59 Depth=2
	s_mov_b32 s40, 0
	s_mov_b32 s43, 0
                                        ; implicit-def: $sgpr41
                                        ; implicit-def: $sgpr42
	s_branch .LBB4_118
.LBB4_117:                              ;   in Loop: Header=BB4_118 Depth=3
	s_or_b32 exec_lo, exec_lo, s45
	s_delay_alu instid0(SALU_CYCLE_1) | instskip(NEXT) | instid1(SALU_CYCLE_1)
	s_and_b32 vcc_lo, exec_lo, vcc_lo
	s_or_b32 s40, vcc_lo, s40
	s_and_not1_b32 vcc_lo, s41, exec_lo
	s_and_b32 s41, s42, exec_lo
	s_delay_alu instid0(SALU_CYCLE_1)
	s_or_b32 s41, vcc_lo, s41
	s_and_not1_b32 exec_lo, exec_lo, s40
	s_cbranch_execz .LBB4_124
.LBB4_118:                              ;   Parent Loop BB4_51 Depth=1
                                        ;     Parent Loop BB4_59 Depth=2
                                        ; =>    This Inner Loop Header: Depth=3
	s_add_i32 s43, s43, 1
                                        ; implicit-def: $sgpr45
	s_delay_alu instid0(SALU_CYCLE_1) | instskip(SKIP_1) | instid1(SALU_CYCLE_1)
	s_cmpk_lg_i32 s43, 0x2710
	s_cselect_b32 s44, -1, 0
	s_and_b32 vcc_lo, exec_lo, s44
	s_cbranch_vccz .LBB4_122
.LBB4_119:                              ;   in Loop: Header=BB4_118 Depth=3
	s_and_not1_b32 s42, s42, exec_lo
	s_and_b32 s45, s45, exec_lo
	s_mov_b32 vcc_lo, -1
	s_or_b32 s42, s42, s45
	s_and_saveexec_b32 s45, s44
	s_cbranch_execz .LBB4_117
; %bb.120:                              ;   in Loop: Header=BB4_118 Depth=3
	s_sleep 1
	s_cbranch_execnz .LBB4_1580
; %bb.121:                              ;   in Loop: Header=BB4_118 Depth=3
	ds_load_b64 v[13:14], v0
	s_and_not1_b32 s42, s42, exec_lo
	s_waitcnt lgkmcnt(0)
	v_cmp_ge_u64_e32 vcc_lo, v[13:14], v[48:49]
	s_or_not1_b32 vcc_lo, vcc_lo, exec_lo
	s_branch .LBB4_117
.LBB4_122:                              ;   in Loop: Header=BB4_118 Depth=3
	s_cbranch_execnz .LBB4_1598
; %bb.123:                              ;   in Loop: Header=BB4_118 Depth=3
	ds_load_b64 v[13:14], v0
	s_and_not1_b32 s44, s44, exec_lo
	s_mov_b32 s43, 0
	s_mov_b32 s45, -1
	s_waitcnt lgkmcnt(0)
	flat_load_b32 v2, v[13:14] glc
	s_waitcnt vmcnt(0) lgkmcnt(0)
	buffer_gl1_inv
	buffer_gl0_inv
	v_cmp_eq_u32_e32 vcc_lo, 0, v2
	s_and_b32 vcc_lo, vcc_lo, exec_lo
	s_delay_alu instid0(SALU_CYCLE_1)
	s_or_b32 s44, s44, vcc_lo
	s_branch .LBB4_119
.LBB4_124:                              ;   in Loop: Header=BB4_59 Depth=2
	s_or_b32 exec_lo, exec_lo, s40
	s_and_saveexec_b32 vcc_lo, s41
	s_delay_alu instid0(SALU_CYCLE_1)
	s_xor_b32 vcc_lo, exec_lo, vcc_lo
	s_cbranch_execz .LBB4_126
; %bb.125:                              ;   in Loop: Header=BB4_59 Depth=2
	ds_store_b32 v0, v134
	s_cbranch_execnz .LBB4_1812
.LBB4_126:                              ;   in Loop: Header=BB4_59 Depth=2
	s_or_b32 exec_lo, exec_lo, s35
	;;#ASMSTART
	s_wakeup
	;;#ASMEND
.LBB4_127:                              ;   in Loop: Header=BB4_59 Depth=2
	s_or_b32 exec_lo, exec_lo, s19
.LBB4_128:                              ;   in Loop: Header=BB4_59 Depth=2
	s_and_not1_saveexec_b32 s14, s14
	s_cbranch_execz .LBB4_130
; %bb.129:                              ;   in Loop: Header=BB4_59 Depth=2
	s_waitcnt lgkmcnt(0)
	s_waitcnt_vscnt null, 0x0
	buffer_gl1_inv
	buffer_gl0_inv
	s_barrier
.LBB4_130:                              ;   in Loop: Header=BB4_59 Depth=2
	s_or_b32 exec_lo, exec_lo, s14
.LBB4_131:                              ;   in Loop: Header=BB4_59 Depth=2
	s_delay_alu instid0(SALU_CYCLE_1)
	s_or_b32 exec_lo, exec_lo, s13
	s_cbranch_execnz .LBB4_1471
; %bb.132:                              ;   in Loop: Header=BB4_59 Depth=2
	ds_load_b64 v[13:14], v0
	v_mov_b32_e32 v9, 0
	s_waitcnt lgkmcnt(0)
	v_cmp_eq_u64_e32 vcc_lo, 0, v[13:14]
	s_or_b32 s13, vcc_lo, vcc_lo
	s_delay_alu instid0(SALU_CYCLE_1)
	s_and_b32 vcc_lo, exec_lo, s13
	s_cbranch_vccnz .LBB4_166
; %bb.133:                              ;   in Loop: Header=BB4_59 Depth=2
	s_mov_b32 s13, -1
	s_and_saveexec_b32 s14, s5
	s_cbranch_execz .LBB4_135
; %bb.134:                              ;   in Loop: Header=BB4_59 Depth=2
	ds_load_b32 v2, v0 offset:720
	s_waitcnt lgkmcnt(0)
	v_and_b32_e32 v2, 15, v2
	s_delay_alu instid0(VALU_DEP_1)
	v_cmp_eq_u32_e32 vcc_lo, 0, v2
	s_or_not1_b32 s13, vcc_lo, exec_lo
.LBB4_135:                              ;   in Loop: Header=BB4_59 Depth=2
	s_or_b32 exec_lo, exec_lo, s14
	s_and_saveexec_b32 s14, s6
	s_cbranch_execz .LBB4_137
; %bb.136:                              ;   in Loop: Header=BB4_59 Depth=2
	ds_load_b32 v2, v0 offset:784
	s_waitcnt lgkmcnt(0)
	v_and_b32_e32 v2, 15, v2
	s_delay_alu instid0(VALU_DEP_1) | instskip(SKIP_3) | instid1(SALU_CYCLE_1)
	v_cmp_eq_u32_e32 vcc_lo, 0, v2
	s_and_b32 s19, s13, vcc_lo
	s_and_not1_b32 s13, s13, exec_lo
	s_and_b32 s19, s19, exec_lo
	s_or_b32 s13, s13, s19
.LBB4_137:                              ;   in Loop: Header=BB4_59 Depth=2
	s_or_b32 exec_lo, exec_lo, s14
	v_cmp_eq_u32_e32 vcc_lo, 0, v12
	s_xor_b32 s13, s13, -1
	v_mov_b32_e32 v22, v99
	v_cndmask_b32_e64 v2, 0, 1, s13
	;;#ASMSTART
	;;#ASMEND
	v_cndmask_b32_e32 v9, 0, v8, vcc_lo
	s_delay_alu instid0(VALU_DEP_2) | instskip(SKIP_2) | instid1(VALU_DEP_3)
	v_cmp_ne_u32_e32 vcc_lo, 0, v2
	v_mov_b32_e32 v2, 0
	s_mov_b32 s13, -1
	v_dual_mov_b32 v19, v0 :: v_dual_mov_b32 v18, v9
	s_cbranch_vccnz .LBB4_153
; %bb.138:                              ;   in Loop: Header=BB4_59 Depth=2
	v_ashrrev_i32_e32 v2, 31, v9
	s_mov_b32 s14, exec_lo
	s_delay_alu instid0(VALU_DEP_1) | instskip(NEXT) | instid1(VALU_DEP_1)
	v_lshrrev_b32_e32 v2, 21, v2
	v_add_nc_u32_e32 v2, v9, v2
	s_delay_alu instid0(VALU_DEP_1) | instskip(NEXT) | instid1(VALU_DEP_1)
	v_ashrrev_i32_e32 v2, 11, v2
	v_sub_nc_u32_e32 v20, v2, v99
	s_delay_alu instid0(VALU_DEP_1)
	v_cmpx_lt_i32_e32 0, v20
	s_cbranch_execz .LBB4_143
; %bb.139:                              ;   in Loop: Header=BB4_59 Depth=2
	s_cbranch_execnz .LBB4_1552
; %bb.140:                              ;   in Loop: Header=BB4_59 Depth=2
	ds_load_b64 v[12:13], v0
	s_mov_b32 s19, 0
	s_waitcnt lgkmcnt(0)
	v_dual_mov_b32 v15, v13 :: v_dual_mov_b32 v14, v12
	s_set_inst_prefetch_distance 0x1
.LBB4_141:                              ;   Parent Loop BB4_51 Depth=1
                                        ;     Parent Loop BB4_59 Depth=2
                                        ; =>    This Inner Loop Header: Depth=3
	s_delay_alu instid0(VALU_DEP_1) | instskip(NEXT) | instid1(VALU_DEP_2)
	v_add_co_u32 v18, vcc_lo, v102, v14
	v_add_co_ci_u32_e32 v19, vcc_lo, v112, v15, vcc_lo
	v_sub_nc_u32_e32 v20, v20, v97
	s_clause 0x3
	global_load_b128 v[68:71], v[18:19], off slc dlc
	global_load_b128 v[80:83], v[18:19], off offset:512 slc dlc
	global_load_b128 v[145:148], v[18:19], off offset:1024 slc dlc
	;; [unrolled: 1-line block ×3, first 2 shown]
	v_add_co_u32 v18, vcc_lo, v102, v12
	v_add_co_ci_u32_e32 v19, vcc_lo, v112, v13, vcc_lo
	v_add_co_u32 v14, vcc_lo, v14, v113
	v_add_co_ci_u32_e32 v15, vcc_lo, v15, v114, vcc_lo
	v_add_co_u32 v12, vcc_lo, v12, v113
	v_cmp_gt_i32_e64 s13, 1, v20
	v_add_co_ci_u32_e32 v13, vcc_lo, v13, v114, vcc_lo
	s_waitcnt vmcnt(3)
	global_store_b128 v[18:19], v[68:71], off glc slc dlc
	s_waitcnt vmcnt(2)
	global_store_b128 v[18:19], v[80:83], off offset:512 glc slc dlc
	s_waitcnt vmcnt(1)
	global_store_b128 v[18:19], v[145:148], off offset:1024 glc slc dlc
	;; [unrolled: 2-line block ×3, first 2 shown]
	s_or_b32 s19, s13, s19
	s_delay_alu instid0(SALU_CYCLE_1)
	s_and_not1_b32 exec_lo, exec_lo, s19
	s_cbranch_execnz .LBB4_141
; %bb.142:                              ;   in Loop: Header=BB4_59 Depth=2
	s_set_inst_prefetch_distance 0x2
	s_or_b32 exec_lo, exec_lo, s19
.LBB4_143:                              ;   in Loop: Header=BB4_59 Depth=2
	s_delay_alu instid0(SALU_CYCLE_1) | instskip(SKIP_4) | instid1(VALU_DEP_2)
	s_or_b32 exec_lo, exec_lo, s14
	v_lshlrev_b32_e32 v14, 11, v2
	v_mov_b32_e32 v2, 0
	s_mov_b32 s13, 0
	s_mov_b32 s19, exec_lo
                                        ; implicit-def: $vgpr18
                                        ; implicit-def: $vgpr19
                                        ; implicit-def: $vgpr22
	v_cmpx_ne_u32_e64 v9, v14
	s_cbranch_execz .LBB4_152
; %bb.144:                              ;   in Loop: Header=BB4_59 Depth=2
	v_lshlrev_b32_e32 v2, 5, v20
	v_sub_nc_u32_e32 v13, v9, v14
	s_mov_b32 s35, exec_lo
	s_delay_alu instid0(VALU_DEP_2) | instskip(NEXT) | instid1(VALU_DEP_2)
	v_sub_nc_u32_e32 v2, v100, v2
	v_ashrrev_i32_e32 v15, 31, v13
	s_delay_alu instid0(VALU_DEP_2) | instskip(NEXT) | instid1(VALU_DEP_2)
	v_ashrrev_i32_e32 v12, 31, v2
	v_lshrrev_b32_e32 v15, 23, v15
	s_delay_alu instid0(VALU_DEP_2) | instskip(NEXT) | instid1(VALU_DEP_2)
	v_lshrrev_b32_e32 v12, 27, v12
	v_add_nc_u32_e32 v19, v13, v15
	s_delay_alu instid0(VALU_DEP_2) | instskip(NEXT) | instid1(VALU_DEP_2)
	v_add_nc_u32_e32 v12, v2, v12
	v_and_b32_e32 v15, 0xfffffe00, v19
	v_ashrrev_i32_e32 v19, 9, v19
	s_delay_alu instid0(VALU_DEP_3) | instskip(NEXT) | instid1(VALU_DEP_3)
	v_and_b32_e32 v18, 0xffffffe0, v12
	v_sub_nc_u32_e32 v21, v13, v15
	v_ashrrev_i32_e32 v12, 5, v12
	s_delay_alu instid0(VALU_DEP_3) | instskip(NEXT) | instid1(VALU_DEP_3)
	v_sub_nc_u32_e32 v20, v2, v18
	v_cmp_lt_i32_e32 vcc_lo, 15, v21
	s_delay_alu instid0(VALU_DEP_2) | instskip(SKIP_1) | instid1(VALU_DEP_2)
	v_lshlrev_b32_e32 v2, 4, v20
	v_add_co_ci_u32_e64 v19, s13, 0, v19, vcc_lo
	v_lshl_add_u32 v18, v12, 9, v2
	s_delay_alu instid0(VALU_DEP_2) | instskip(NEXT) | instid1(VALU_DEP_2)
	v_sub_nc_u32_e32 v23, v19, v12
	v_sub_nc_u32_e32 v2, v13, v18
	s_delay_alu instid0(VALU_DEP_1)
	v_cmpx_lt_i32_e32 15, v2
	s_cbranch_execz .LBB4_149
; %bb.145:                              ;   in Loop: Header=BB4_59 Depth=2
	s_cbranch_execnz .LBB4_1616
; %bb.146:                              ;   in Loop: Header=BB4_59 Depth=2
	ds_load_b64 v[12:13], v0
	v_add_nc_u32_e32 v18, v18, v14
	s_mov_b32 s40, 0
	s_delay_alu instid0(VALU_DEP_1)
	v_ashrrev_i32_e32 v19, 31, v18
.LBB4_147:                              ;   Parent Loop BB4_51 Depth=1
                                        ;     Parent Loop BB4_59 Depth=2
                                        ; =>    This Inner Loop Header: Depth=3
	s_waitcnt lgkmcnt(0)
	v_add_co_u32 v80, s13, v12, v18
	s_delay_alu instid0(VALU_DEP_1)
	v_add_co_ci_u32_e64 v81, s13, v13, v19, s13
	v_sub_nc_u32_e32 v2, v2, v101
	v_add_co_u32 v18, s14, v18, v117
	global_load_b128 v[68:71], v[80:81], off slc dlc
	v_sub_nc_u32_e32 v23, v23, v97
	v_cmp_gt_i32_e64 s13, 16, v2
	v_add_co_ci_u32_e64 v19, s14, v19, v118, s14
	s_delay_alu instid0(VALU_DEP_2)
	s_or_b32 s40, s13, s40
	s_waitcnt vmcnt(0)
	global_store_b128 v[80:81], v[68:71], off glc slc dlc
	s_and_not1_b32 exec_lo, exec_lo, s40
	s_cbranch_execnz .LBB4_147
; %bb.148:                              ;   in Loop: Header=BB4_59 Depth=2
	s_or_b32 exec_lo, exec_lo, s40
.LBB4_149:                              ;   in Loop: Header=BB4_59 Depth=2
	s_delay_alu instid0(SALU_CYCLE_1) | instskip(SKIP_4) | instid1(VALU_DEP_2)
	s_or_b32 exec_lo, exec_lo, s35
	v_and_b32_e32 v12, 15, v9
	v_mov_b32_e32 v2, 0
	s_mov_b32 s14, 0
	s_mov_b32 s35, exec_lo
                                        ; implicit-def: $vgpr19
                                        ; implicit-def: $vgpr22
	v_cndmask_b32_e32 v18, v21, v12, vcc_lo
	s_delay_alu instid0(VALU_DEP_1)
	v_cmpx_ne_u32_e32 0, v18
; %bb.150:                              ;   in Loop: Header=BB4_59 Depth=2
	v_cmp_lt_i32_e64 s13, 0, v23
	v_sub_nc_u32_e32 v12, v21, v12
	s_mov_b32 s14, exec_lo
	s_delay_alu instid0(VALU_DEP_2) | instskip(NEXT) | instid1(VALU_DEP_1)
	v_cndmask_b32_e64 v2, 0, v97, s13
	v_sub_nc_u32_e32 v2, v2, v23
	s_delay_alu instid0(VALU_DEP_1) | instskip(NEXT) | instid1(VALU_DEP_1)
	v_lshl_add_u32 v19, v2, 5, v20
	v_ashrrev_i32_e32 v2, 31, v19
	s_delay_alu instid0(VALU_DEP_1) | instskip(NEXT) | instid1(VALU_DEP_1)
	v_lshrrev_b32_e32 v2, 27, v2
	v_dual_cndmask_b32 v12, 0, v12 :: v_dual_add_nc_u32 v13, v19, v2
	s_delay_alu instid0(VALU_DEP_1) | instskip(NEXT) | instid1(VALU_DEP_2)
	v_add3_u32 v2, v15, v14, v12
	v_ashrrev_i32_e32 v22, 5, v13
; %bb.151:                              ;   in Loop: Header=BB4_59 Depth=2
	s_or_b32 exec_lo, exec_lo, s35
	s_delay_alu instid0(SALU_CYCLE_1)
	s_and_b32 s13, s14, exec_lo
.LBB4_152:                              ;   in Loop: Header=BB4_59 Depth=2
	s_or_b32 exec_lo, exec_lo, s19
.LBB4_153:                              ;   in Loop: Header=BB4_59 Depth=2
	s_and_saveexec_b32 s14, s13
	s_cbranch_execz .LBB4_165
; %bb.154:                              ;   in Loop: Header=BB4_59 Depth=2
	s_delay_alu instid0(VALU_DEP_1) | instskip(SKIP_1) | instid1(VALU_DEP_1)
	v_ashrrev_i32_e32 v12, 31, v18
	s_mov_b32 s13, exec_lo
	v_lshrrev_b32_e32 v12, 23, v12
	s_delay_alu instid0(VALU_DEP_1) | instskip(NEXT) | instid1(VALU_DEP_1)
	v_add_nc_u32_e32 v12, v18, v12
	v_ashrrev_i32_e32 v21, 9, v12
	s_delay_alu instid0(VALU_DEP_1) | instskip(NEXT) | instid1(VALU_DEP_1)
	v_sub_nc_u32_e32 v20, v21, v22
	v_cmpx_lt_i32_e32 0, v20
	s_cbranch_execz .LBB4_159
; %bb.155:                              ;   in Loop: Header=BB4_59 Depth=2
	s_cbranch_execnz .LBB4_1546
; %bb.156:                              ;   in Loop: Header=BB4_59 Depth=2
	v_ashrrev_i32_e32 v12, 31, v19
	s_mov_b32 s19, 0
	s_delay_alu instid0(VALU_DEP_1) | instskip(NEXT) | instid1(VALU_DEP_1)
	v_lshrrev_b32_e32 v12, 27, v12
	v_add_nc_u32_e32 v14, v19, v12
	ds_load_b64 v[12:13], v0
	v_lshlrev_b32_e32 v15, 9, v22
	v_and_b32_e32 v14, 0xffffffe0, v14
	s_delay_alu instid0(VALU_DEP_1) | instskip(NEXT) | instid1(VALU_DEP_1)
	v_sub_nc_u32_e32 v14, v19, v14
	v_add3_u32 v22, v2, v14, v15
	s_delay_alu instid0(VALU_DEP_1)
	v_ashrrev_i32_e32 v23, 31, v22
	s_waitcnt lgkmcnt(0)
	v_dual_mov_b32 v15, v13 :: v_dual_mov_b32 v14, v12
.LBB4_157:                              ;   Parent Loop BB4_51 Depth=1
                                        ;     Parent Loop BB4_59 Depth=2
                                        ; =>    This Inner Loop Header: Depth=3
	s_delay_alu instid0(VALU_DEP_1) | instskip(NEXT) | instid1(VALU_DEP_2)
	v_add_co_u32 v68, vcc_lo, v22, v14
	v_add_co_ci_u32_e32 v69, vcc_lo, v23, v15, vcc_lo
	v_sub_nc_u32_e32 v20, v20, v97
	s_clause 0xf
	flat_load_u8 v70, v[68:69] slc dlc
	flat_load_u8 v71, v[68:69] offset:32 slc dlc
	flat_load_u8 v80, v[68:69] offset:64 slc dlc
	;; [unrolled: 1-line block ×15, first 2 shown]
	v_add_co_u32 v68, vcc_lo, v22, v12
	v_add_co_ci_u32_e32 v69, vcc_lo, v23, v13, vcc_lo
	v_add_co_u32 v14, vcc_lo, v14, v117
	v_add_co_ci_u32_e32 v15, vcc_lo, v15, v118, vcc_lo
	;; [unrolled: 2-line block ×3, first 2 shown]
	v_cmp_gt_i32_e32 vcc_lo, 1, v20
	s_waitcnt vmcnt(15) lgkmcnt(15)
	flat_store_b8 v[68:69], v70 glc slc dlc
	s_waitcnt vmcnt(14) lgkmcnt(15)
	flat_store_b8 v[68:69], v71 offset:32 glc slc dlc
	s_waitcnt vmcnt(13) lgkmcnt(15)
	flat_store_b8 v[68:69], v80 offset:64 glc slc dlc
	;; [unrolled: 2-line block ×15, first 2 shown]
	s_or_b32 s19, vcc_lo, s19
	s_delay_alu instid0(SALU_CYCLE_1)
	s_and_not1_b32 exec_lo, exec_lo, s19
	s_cbranch_execnz .LBB4_157
; %bb.158:                              ;   in Loop: Header=BB4_59 Depth=2
	s_or_b32 exec_lo, exec_lo, s19
.LBB4_159:                              ;   in Loop: Header=BB4_59 Depth=2
	s_delay_alu instid0(SALU_CYCLE_1) | instskip(SKIP_2) | instid1(VALU_DEP_1)
	s_or_b32 exec_lo, exec_lo, s13
	v_lshlrev_b32_e32 v12, 9, v21
	s_mov_b32 s19, exec_lo
	v_cmpx_ne_u32_e64 v18, v12
	s_cbranch_execz .LBB4_164
; %bb.160:                              ;   in Loop: Header=BB4_59 Depth=2
	v_ashrrev_i32_e32 v13, 31, v19
	v_lshlrev_b32_e32 v14, 5, v20
	s_delay_alu instid0(VALU_DEP_2) | instskip(NEXT) | instid1(VALU_DEP_1)
	v_lshrrev_b32_e32 v13, 27, v13
	v_add_nc_u32_e32 v13, v19, v13
	s_delay_alu instid0(VALU_DEP_1) | instskip(NEXT) | instid1(VALU_DEP_1)
	v_and_b32_e32 v13, 0xffffffe0, v13
	v_sub_nc_u32_e32 v13, v19, v13
	s_delay_alu instid0(VALU_DEP_1) | instskip(NEXT) | instid1(VALU_DEP_1)
	v_sub_nc_u32_e32 v13, v13, v14
	v_add_nc_u32_e32 v15, v12, v13
	s_delay_alu instid0(VALU_DEP_1) | instskip(NEXT) | instid1(VALU_DEP_1)
	v_sub_nc_u32_e32 v14, v18, v15
	v_cmp_lt_i32_e32 vcc_lo, 0, v14
	s_and_b32 exec_lo, exec_lo, vcc_lo
	s_cbranch_execz .LBB4_164
; %bb.161:                              ;   in Loop: Header=BB4_59 Depth=2
	s_cbranch_execnz .LBB4_1608
; %bb.162:                              ;   in Loop: Header=BB4_59 Depth=2
	ds_load_b64 v[12:13], v0
	v_add_nc_u32_e32 v2, v15, v2
	s_mov_b32 s35, 0
	s_delay_alu instid0(VALU_DEP_1)
	v_ashrrev_i32_e32 v15, 31, v2
.LBB4_163:                              ;   Parent Loop BB4_51 Depth=1
                                        ;     Parent Loop BB4_59 Depth=2
                                        ; =>    This Inner Loop Header: Depth=3
	s_waitcnt lgkmcnt(0)
	v_add_co_u32 v18, vcc_lo, v12, v2
	s_delay_alu instid0(VALU_DEP_2)
	v_add_co_ci_u32_e32 v19, vcc_lo, v13, v15, vcc_lo
	v_sub_nc_u32_e32 v14, v14, v98
	v_add_co_u32 v2, s13, v2, v128
	flat_load_u8 v20, v[18:19] slc dlc
	v_add_co_ci_u32_e64 v15, s13, v15, v129, s13
	v_cmp_gt_i32_e32 vcc_lo, 1, v14
	s_or_b32 s35, vcc_lo, s35
	s_waitcnt vmcnt(0) lgkmcnt(0)
	flat_store_b8 v[18:19], v20 glc slc dlc
	s_and_not1_b32 exec_lo, exec_lo, s35
	s_cbranch_execnz .LBB4_163
.LBB4_164:                              ;   in Loop: Header=BB4_59 Depth=2
	s_or_b32 exec_lo, exec_lo, s19
.LBB4_165:                              ;   in Loop: Header=BB4_59 Depth=2
	s_delay_alu instid0(SALU_CYCLE_1)
	s_or_b32 exec_lo, exec_lo, s14
.LBB4_166:                              ;   in Loop: Header=BB4_59 Depth=2
	s_and_saveexec_b32 s13, s3
	s_cbranch_execz .LBB4_188
; %bb.167:                              ;   in Loop: Header=BB4_59 Depth=2
	s_and_saveexec_b32 s14, s4
	s_delay_alu instid0(SALU_CYCLE_1)
	s_xor_b32 s14, exec_lo, s14
	s_cbranch_execz .LBB4_185
; %bb.168:                              ;   in Loop: Header=BB4_59 Depth=2
	s_and_saveexec_b32 s19, s1
	s_cbranch_execz .LBB4_184
; %bb.169:                              ;   in Loop: Header=BB4_59 Depth=2
	s_mov_b32 s40, exec_lo
	s_mov_b32 s35, exec_lo
	v_mbcnt_lo_u32_b32 v2, s40, 0
	s_waitcnt lgkmcnt(0)
	s_waitcnt_vscnt null, 0x0
	buffer_gl1_inv
	buffer_gl0_inv
	v_cmpx_eq_u32_e32 0, v2
	s_cbranch_execz .LBB4_171
; %bb.170:                              ;   in Loop: Header=BB4_59 Depth=2
	s_bcnt1_i32_b32 vcc_lo, s40
	s_delay_alu instid0(SALU_CYCLE_1)
	v_mov_b32_e32 v2, vcc_lo
	ds_add_u64 v0, v[2:3]
	s_cbranch_execnz .LBB4_1582
.LBB4_171:                              ;   in Loop: Header=BB4_59 Depth=2
	s_or_b32 exec_lo, exec_lo, s35
	s_cbranch_execnz .LBB4_1560
; %bb.172:                              ;   in Loop: Header=BB4_59 Depth=2
	ds_load_b64 v[12:13], v0
	v_add_co_u32 v48, vcc_lo, v48, v97
	v_add_co_ci_u32_e32 v49, vcc_lo, 0, v49, vcc_lo
	s_mov_b32 s35, exec_lo
	s_waitcnt lgkmcnt(0)
	s_delay_alu instid0(VALU_DEP_1)
	v_cmpx_lt_u64_e64 v[12:13], v[48:49]
	s_cbranch_execz .LBB4_183
; %bb.173:                              ;   in Loop: Header=BB4_59 Depth=2
	s_mov_b32 s40, 0
	s_mov_b32 s43, 0
                                        ; implicit-def: $sgpr41
                                        ; implicit-def: $sgpr42
	s_branch .LBB4_175
.LBB4_174:                              ;   in Loop: Header=BB4_175 Depth=3
	s_or_b32 exec_lo, exec_lo, s45
	s_delay_alu instid0(SALU_CYCLE_1) | instskip(NEXT) | instid1(SALU_CYCLE_1)
	s_and_b32 vcc_lo, exec_lo, vcc_lo
	s_or_b32 s40, vcc_lo, s40
	s_and_not1_b32 vcc_lo, s41, exec_lo
	s_and_b32 s41, s42, exec_lo
	s_delay_alu instid0(SALU_CYCLE_1)
	s_or_b32 s41, vcc_lo, s41
	s_and_not1_b32 exec_lo, exec_lo, s40
	s_cbranch_execz .LBB4_181
.LBB4_175:                              ;   Parent Loop BB4_51 Depth=1
                                        ;     Parent Loop BB4_59 Depth=2
                                        ; =>    This Inner Loop Header: Depth=3
	s_add_i32 s43, s43, 1
                                        ; implicit-def: $sgpr45
	s_delay_alu instid0(SALU_CYCLE_1) | instskip(SKIP_1) | instid1(SALU_CYCLE_1)
	s_cmpk_lg_i32 s43, 0x2710
	s_cselect_b32 s44, -1, 0
	s_and_b32 vcc_lo, exec_lo, s44
	s_cbranch_vccz .LBB4_179
.LBB4_176:                              ;   in Loop: Header=BB4_175 Depth=3
	s_and_not1_b32 s42, s42, exec_lo
	s_and_b32 s45, s45, exec_lo
	s_mov_b32 vcc_lo, -1
	s_or_b32 s42, s42, s45
	s_and_saveexec_b32 s45, s44
	s_cbranch_execz .LBB4_174
; %bb.177:                              ;   in Loop: Header=BB4_175 Depth=3
	s_sleep 1
	s_cbranch_execnz .LBB4_1634
; %bb.178:                              ;   in Loop: Header=BB4_175 Depth=3
	ds_load_b64 v[12:13], v0
	s_and_not1_b32 s42, s42, exec_lo
	s_waitcnt lgkmcnt(0)
	v_cmp_ge_u64_e32 vcc_lo, v[12:13], v[48:49]
	s_or_not1_b32 vcc_lo, vcc_lo, exec_lo
	s_branch .LBB4_174
.LBB4_179:                              ;   in Loop: Header=BB4_175 Depth=3
	s_cbranch_execnz .LBB4_1644
; %bb.180:                              ;   in Loop: Header=BB4_175 Depth=3
	ds_load_b64 v[12:13], v0
	s_and_not1_b32 s44, s44, exec_lo
	s_mov_b32 s43, 0
	s_mov_b32 s45, -1
	s_waitcnt lgkmcnt(0)
	flat_load_b32 v2, v[12:13] glc
	s_waitcnt vmcnt(0) lgkmcnt(0)
	buffer_gl1_inv
	buffer_gl0_inv
	v_cmp_eq_u32_e32 vcc_lo, 0, v2
	s_and_b32 vcc_lo, vcc_lo, exec_lo
	s_delay_alu instid0(SALU_CYCLE_1)
	s_or_b32 s44, s44, vcc_lo
	s_branch .LBB4_176
.LBB4_181:                              ;   in Loop: Header=BB4_59 Depth=2
	s_or_b32 exec_lo, exec_lo, s40
	s_and_saveexec_b32 vcc_lo, s41
	s_delay_alu instid0(SALU_CYCLE_1)
	s_xor_b32 vcc_lo, exec_lo, vcc_lo
	s_cbranch_execz .LBB4_183
; %bb.182:                              ;   in Loop: Header=BB4_59 Depth=2
	ds_store_b32 v0, v134
	s_cbranch_execnz .LBB4_1858
.LBB4_183:                              ;   in Loop: Header=BB4_59 Depth=2
	s_or_b32 exec_lo, exec_lo, s35
	;;#ASMSTART
	s_wakeup
	;;#ASMEND
.LBB4_184:                              ;   in Loop: Header=BB4_59 Depth=2
	s_or_b32 exec_lo, exec_lo, s19
.LBB4_185:                              ;   in Loop: Header=BB4_59 Depth=2
	s_and_not1_saveexec_b32 s14, s14
	s_cbranch_execz .LBB4_187
; %bb.186:                              ;   in Loop: Header=BB4_59 Depth=2
	s_waitcnt lgkmcnt(0)
	s_waitcnt_vscnt null, 0x0
	buffer_gl1_inv
	buffer_gl0_inv
	s_barrier
.LBB4_187:                              ;   in Loop: Header=BB4_59 Depth=2
	s_or_b32 exec_lo, exec_lo, s14
.LBB4_188:                              ;   in Loop: Header=BB4_59 Depth=2
	s_delay_alu instid0(SALU_CYCLE_1) | instskip(SKIP_1) | instid1(SALU_CYCLE_1)
	s_or_b32 exec_lo, exec_lo, s13
                                        ; implicit-def: $vgpr2
	s_and_saveexec_b32 s13, s7
	s_xor_b32 s14, exec_lo, s13
	s_cbranch_execz .LBB4_192
; %bb.189:                              ;   in Loop: Header=BB4_59 Depth=2
	v_and_b32_e32 v2, 16, v30
	v_cmp_lt_i32_e32 vcc_lo, 0, v9
	s_delay_alu instid0(VALU_DEP_2) | instskip(SKIP_1) | instid1(VALU_DEP_2)
	v_cmp_ne_u32_e64 s13, 0, v2
	v_and_b32_e32 v2, 16, v30
	s_and_b32 s19, s13, vcc_lo
	s_delay_alu instid0(SALU_CYCLE_1)
	s_and_saveexec_b32 s13, s19
	s_cbranch_execz .LBB4_191
; %bb.190:                              ;   in Loop: Header=BB4_59 Depth=2
	v_mov_b32_e32 v2, 1
	s_waitcnt lgkmcnt(0)
	s_waitcnt_vscnt null, 0x0
	buffer_gl1_inv
	buffer_gl0_inv
.LBB4_191:                              ;   in Loop: Header=BB4_59 Depth=2
	s_or_b32 exec_lo, exec_lo, s13
.LBB4_192:                              ;   in Loop: Header=BB4_59 Depth=2
	s_and_not1_saveexec_b32 s13, s14
	s_cbranch_execz .LBB4_214
; %bb.193:                              ;   in Loop: Header=BB4_59 Depth=2
	s_and_saveexec_b32 s14, s4
	s_delay_alu instid0(SALU_CYCLE_1)
	s_xor_b32 s14, exec_lo, s14
	s_cbranch_execz .LBB4_211
; %bb.194:                              ;   in Loop: Header=BB4_59 Depth=2
	s_and_saveexec_b32 s19, s1
	s_cbranch_execz .LBB4_210
; %bb.195:                              ;   in Loop: Header=BB4_59 Depth=2
	s_mov_b32 s40, exec_lo
	s_mov_b32 s35, exec_lo
	v_mbcnt_lo_u32_b32 v2, s40, 0
	;;#ASMSTART
	s_waitcnt lgkmcnt(0) vmcnt(0)
	;;#ASMEND
	s_delay_alu instid0(VALU_DEP_1)
	v_cmpx_eq_u32_e32 0, v2
	s_cbranch_execz .LBB4_197
; %bb.196:                              ;   in Loop: Header=BB4_59 Depth=2
	s_bcnt1_i32_b32 vcc_lo, s40
	s_delay_alu instid0(SALU_CYCLE_1)
	v_mov_b32_e32 v2, vcc_lo
	ds_add_u64 v0, v[2:3]
	s_cbranch_execnz .LBB4_1590
.LBB4_197:                              ;   in Loop: Header=BB4_59 Depth=2
	s_or_b32 exec_lo, exec_lo, s35
	s_cbranch_execnz .LBB4_1566
; %bb.198:                              ;   in Loop: Header=BB4_59 Depth=2
	ds_load_b64 v[12:13], v0
	v_add_co_u32 v48, vcc_lo, v48, v97
	v_add_co_ci_u32_e32 v49, vcc_lo, 0, v49, vcc_lo
	s_mov_b32 s35, exec_lo
	s_waitcnt lgkmcnt(0)
	s_delay_alu instid0(VALU_DEP_1)
	v_cmpx_lt_u64_e64 v[12:13], v[48:49]
	s_cbranch_execz .LBB4_209
; %bb.199:                              ;   in Loop: Header=BB4_59 Depth=2
	s_mov_b32 s40, 0
	s_mov_b32 s43, 0
                                        ; implicit-def: $sgpr41
                                        ; implicit-def: $sgpr42
	s_branch .LBB4_201
.LBB4_200:                              ;   in Loop: Header=BB4_201 Depth=3
	s_or_b32 exec_lo, exec_lo, s45
	s_delay_alu instid0(SALU_CYCLE_1) | instskip(NEXT) | instid1(SALU_CYCLE_1)
	s_and_b32 vcc_lo, exec_lo, vcc_lo
	s_or_b32 s40, vcc_lo, s40
	s_and_not1_b32 vcc_lo, s41, exec_lo
	s_and_b32 s41, s42, exec_lo
	s_delay_alu instid0(SALU_CYCLE_1)
	s_or_b32 s41, vcc_lo, s41
	s_and_not1_b32 exec_lo, exec_lo, s40
	s_cbranch_execz .LBB4_207
.LBB4_201:                              ;   Parent Loop BB4_51 Depth=1
                                        ;     Parent Loop BB4_59 Depth=2
                                        ; =>    This Inner Loop Header: Depth=3
	s_add_i32 s43, s43, 1
                                        ; implicit-def: $sgpr45
	s_delay_alu instid0(SALU_CYCLE_1) | instskip(SKIP_1) | instid1(SALU_CYCLE_1)
	s_cmpk_lg_i32 s43, 0x2710
	s_cselect_b32 s44, -1, 0
	s_and_b32 vcc_lo, exec_lo, s44
	s_cbranch_vccz .LBB4_205
.LBB4_202:                              ;   in Loop: Header=BB4_201 Depth=3
	s_and_not1_b32 s42, s42, exec_lo
	s_and_b32 s45, s45, exec_lo
	s_mov_b32 vcc_lo, -1
	s_or_b32 s42, s42, s45
	s_and_saveexec_b32 s45, s44
	s_cbranch_execz .LBB4_200
; %bb.203:                              ;   in Loop: Header=BB4_201 Depth=3
	s_sleep 1
	s_cbranch_execnz .LBB4_1638
; %bb.204:                              ;   in Loop: Header=BB4_201 Depth=3
	ds_load_b64 v[12:13], v0
	s_and_not1_b32 s42, s42, exec_lo
	s_waitcnt lgkmcnt(0)
	v_cmp_ge_u64_e32 vcc_lo, v[12:13], v[48:49]
	s_or_not1_b32 vcc_lo, vcc_lo, exec_lo
	s_branch .LBB4_200
.LBB4_205:                              ;   in Loop: Header=BB4_201 Depth=3
	s_cbranch_execnz .LBB4_1658
; %bb.206:                              ;   in Loop: Header=BB4_201 Depth=3
	ds_load_b64 v[12:13], v0
	s_and_not1_b32 s44, s44, exec_lo
	s_mov_b32 s43, 0
	s_mov_b32 s45, -1
	s_waitcnt lgkmcnt(0)
	s_waitcnt_vscnt null, 0x0
	flat_load_b32 v2, v[12:13] glc
	s_waitcnt vmcnt(0) lgkmcnt(0)
	buffer_gl1_inv
	buffer_gl0_inv
	v_cmp_eq_u32_e32 vcc_lo, 0, v2
	s_and_b32 vcc_lo, vcc_lo, exec_lo
	s_delay_alu instid0(SALU_CYCLE_1)
	s_or_b32 s44, s44, vcc_lo
	s_branch .LBB4_202
.LBB4_207:                              ;   in Loop: Header=BB4_59 Depth=2
	s_or_b32 exec_lo, exec_lo, s40
	s_and_saveexec_b32 vcc_lo, s41
	s_delay_alu instid0(SALU_CYCLE_1)
	s_xor_b32 vcc_lo, exec_lo, vcc_lo
	s_cbranch_execz .LBB4_209
; %bb.208:                              ;   in Loop: Header=BB4_59 Depth=2
	ds_store_b32 v0, v134
	s_cbranch_execnz .LBB4_1862
.LBB4_209:                              ;   in Loop: Header=BB4_59 Depth=2
	s_or_b32 exec_lo, exec_lo, s35
	;;#ASMSTART
	s_wakeup
	;;#ASMEND
.LBB4_210:                              ;   in Loop: Header=BB4_59 Depth=2
	s_or_b32 exec_lo, exec_lo, s19
.LBB4_211:                              ;   in Loop: Header=BB4_59 Depth=2
	s_and_not1_saveexec_b32 s14, s14
	s_cbranch_execz .LBB4_213
; %bb.212:                              ;   in Loop: Header=BB4_59 Depth=2
	;;#ASMSTART
	s_waitcnt lgkmcnt(0) vmcnt(0)
	;;#ASMEND
	s_waitcnt lgkmcnt(0)
	s_waitcnt_vscnt null, 0x0
	s_barrier
.LBB4_213:                              ;   in Loop: Header=BB4_59 Depth=2
	s_or_b32 exec_lo, exec_lo, s14
	v_and_b32_e32 v2, 16, v30
.LBB4_214:                              ;   in Loop: Header=BB4_59 Depth=2
	s_or_b32 exec_lo, exec_lo, s13
	s_delay_alu instid0(SALU_CYCLE_1) | instskip(NEXT) | instid1(VALU_DEP_1)
	s_mov_b32 s13, exec_lo
	v_cmpx_ne_u32_e32 0, v2
	s_cbranch_execz .LBB4_218
; %bb.215:                              ;   in Loop: Header=BB4_59 Depth=2
	s_and_saveexec_b32 s14, s11
	s_cbranch_execz .LBB4_217
; %bb.216:                              ;   in Loop: Header=BB4_59 Depth=2
	s_waitcnt lgkmcnt(0)
	s_waitcnt_vscnt null, 0x0
	flat_store_b32 v[38:39], v134
.LBB4_217:                              ;   in Loop: Header=BB4_59 Depth=2
	s_or_b32 exec_lo, exec_lo, s14
	v_add_co_u32 v34, vcc_lo, v34, 2
	v_add_co_ci_u32_e32 v35, vcc_lo, 0, v35, vcc_lo
	s_waitcnt lgkmcnt(0)
	s_waitcnt_vscnt null, 0x0
	flat_store_b64 v[32:33], v[34:35]
.LBB4_218:                              ;   in Loop: Header=BB4_59 Depth=2
	s_or_b32 exec_lo, exec_lo, s13
	v_dual_mov_b32 v2, s18 :: v_dual_add_nc_u32 v17, v8, v17
	s_xor_b32 s13, s17, -1
	s_mov_b32 s17, 0
	s_mov_b32 s18, 2
	s_delay_alu instid0(VALU_DEP_1) | instskip(SKIP_1) | instid1(SALU_CYCLE_1)
	v_cmp_ge_i32_e32 vcc_lo, v17, v16
	s_or_b32 s13, s13, vcc_lo
	s_and_b32 s13, exec_lo, s13
	s_delay_alu instid0(SALU_CYCLE_1) | instskip(NEXT) | instid1(SALU_CYCLE_1)
	s_or_b32 s16, s13, s16
	s_and_not1_b32 exec_lo, exec_lo, s16
	s_cbranch_execnz .LBB4_59
; %bb.219:                              ;   in Loop: Header=BB4_51 Depth=1
	s_or_b32 exec_lo, exec_lo, s16
.LBB4_220:                              ;   in Loop: Header=BB4_51 Depth=1
	s_delay_alu instid0(SALU_CYCLE_1) | instskip(NEXT) | instid1(SALU_CYCLE_1)
	s_or_b32 exec_lo, exec_lo, s15
	s_mov_b32 s14, exec_lo
	v_cmpx_gt_i32_e32 2, v2
	s_cbranch_execz .LBB4_301
; %bb.221:                              ;   in Loop: Header=BB4_51 Depth=1
	v_cmp_eq_u32_e64 s13, 0, v2
	s_mov_b32 s15, 0
.LBB4_222:                              ;   Parent Loop BB4_51 Depth=1
                                        ; =>  This Loop Header: Depth=2
                                        ;       Child Loop BB4_228 Depth 3
                                        ;       Child Loop BB4_255 Depth 3
	;; [unrolled: 1-line block ×3, first 2 shown]
	v_and_b32_e32 v2, 8, v30
	s_mov_b32 s17, -1
	s_mov_b32 s16, exec_lo
	s_delay_alu instid0(VALU_DEP_1)
	v_cmpx_ne_u32_e32 0, v2
	s_cbranch_execz .LBB4_236
; %bb.223:                              ;   in Loop: Header=BB4_222 Depth=2
	v_add_co_u32 v11, vcc_lo, v50, 8
	v_add_co_ci_u32_e32 v12, vcc_lo, 0, v51, vcc_lo
	v_add_co_u32 v9, vcc_lo, v34, 2
	v_add_co_ci_u32_e32 v10, vcc_lo, 0, v35, vcc_lo
	v_mov_b32_e32 v2, 1
	s_mov_b32 s17, exec_lo
	s_delay_alu instid0(VALU_DEP_2)
	v_cmpx_lt_u64_e64 v[11:12], v[9:10]
	s_cbranch_execz .LBB4_235
; %bb.224:                              ;   in Loop: Header=BB4_222 Depth=2
	v_mov_b32_e32 v2, 0
	s_mov_b32 s18, 0
                                        ; implicit-def: $sgpr19
	s_branch .LBB4_228
.LBB4_225:                              ;   in Loop: Header=BB4_228 Depth=3
	s_or_b32 exec_lo, exec_lo, s42
	v_mov_b32_e32 v11, 0
	s_or_not1_b32 s41, s41, exec_lo
.LBB4_226:                              ;   in Loop: Header=BB4_228 Depth=3
	s_or_b32 exec_lo, exec_lo, s40
	s_delay_alu instid0(VALU_DEP_1) | instskip(SKIP_2) | instid1(SALU_CYCLE_1)
	v_mov_b32_e32 v2, v11
	s_and_not1_b32 s19, s19, exec_lo
	s_and_b32 vcc_lo, s41, exec_lo
	s_or_b32 s19, s19, vcc_lo
.LBB4_227:                              ;   in Loop: Header=BB4_228 Depth=3
	s_or_b32 exec_lo, exec_lo, s35
	s_waitcnt vmcnt(0) lgkmcnt(0)
	v_add_co_u32 v11, vcc_lo, v50, 8
	v_add_co_ci_u32_e32 v12, vcc_lo, 0, v51, vcc_lo
	s_xor_b32 s35, s19, -1
	s_delay_alu instid0(VALU_DEP_1) | instskip(SKIP_1) | instid1(SALU_CYCLE_1)
	v_cmp_ge_u64_e32 vcc_lo, v[11:12], v[9:10]
	s_or_b32 vcc_lo, s35, vcc_lo
	s_and_b32 vcc_lo, exec_lo, vcc_lo
	s_delay_alu instid0(SALU_CYCLE_1) | instskip(NEXT) | instid1(SALU_CYCLE_1)
	s_or_b32 s18, vcc_lo, s18
	s_and_not1_b32 exec_lo, exec_lo, s18
	s_cbranch_execz .LBB4_234
.LBB4_228:                              ;   Parent Loop BB4_51 Depth=1
                                        ;     Parent Loop BB4_222 Depth=2
                                        ; =>    This Inner Loop Header: Depth=3
	s_sleep 1
	flat_load_b64 v[50:51], v[32:33] glc
	v_and_b32_e32 v11, 64, v30
	s_and_not1_b32 s19, s19, exec_lo
	s_mov_b32 s35, exec_lo
	s_delay_alu instid0(VALU_DEP_1)
	v_cmpx_eq_u32_e32 0, v11
	s_cbranch_execz .LBB4_227
; %bb.229:                              ;   in Loop: Header=BB4_228 Depth=3
	v_add_nc_u32_e32 v11, 1, v2
	s_mov_b32 s41, -1
	s_mov_b32 s40, exec_lo
	v_cmpx_lt_i32_e32 0x270e, v2
	s_cbranch_execz .LBB4_226
; %bb.230:                              ;   in Loop: Header=BB4_228 Depth=3
	s_cbranch_execnz .LBB4_1465
; %bb.231:                              ;   in Loop: Header=BB4_228 Depth=3
	ds_load_b64 v[11:12], v0
	s_mov_b32 s42, exec_lo
	s_waitcnt vmcnt(0) lgkmcnt(0)
	s_waitcnt_vscnt null, 0x0
	flat_load_b32 v2, v[11:12] glc
	s_waitcnt vmcnt(0) lgkmcnt(0)
	buffer_gl1_inv
	buffer_gl0_inv
	v_cmpx_ne_u32_e32 0, v2
	s_cbranch_execz .LBB4_225
; %bb.232:                              ;   in Loop: Header=BB4_228 Depth=3
	ds_store_b32 v0, v2
	s_cbranch_execnz .LBB4_1477
; %bb.233:                              ;   in Loop: Header=BB4_228 Depth=3
	v_or_b32_e32 v30, 64, v30
	s_xor_b32 s41, exec_lo, -1
	s_branch .LBB4_225
.LBB4_234:                              ;   in Loop: Header=BB4_222 Depth=2
	s_or_b32 exec_lo, exec_lo, s18
	v_and_b32_e32 v2, 8, v30
.LBB4_235:                              ;   in Loop: Header=BB4_222 Depth=2
	s_or_b32 exec_lo, exec_lo, s17
	s_delay_alu instid0(VALU_DEP_1)
	v_cmp_eq_u32_e32 vcc_lo, 0, v2
	;;#ASMSTART
	s_wakeup
	;;#ASMEND
	s_or_not1_b32 s17, vcc_lo, exec_lo
.LBB4_236:                              ;   in Loop: Header=BB4_222 Depth=2
	s_or_b32 exec_lo, exec_lo, s16
	v_sub_nc_u32_e32 v2, v16, v17
	s_xor_b32 s13, s13, -1
	s_delay_alu instid0(SALU_CYCLE_1) | instskip(NEXT) | instid1(SALU_CYCLE_1)
	s_and_b32 s13, exec_lo, s13
	s_or_b32 s15, s13, s15
	s_delay_alu instid0(VALU_DEP_1) | instskip(SKIP_1) | instid1(SALU_CYCLE_1)
	v_min_i32_e32 v8, v8, v2
	s_xor_b32 s13, s17, -1
	s_and_saveexec_b32 s16, s13
	s_cbranch_execz .LBB4_246
; %bb.237:                              ;   in Loop: Header=BB4_222 Depth=2
	v_and_b32_e32 v2, 0x100, v30
	s_mov_b32 s13, -1
                                        ; implicit-def: $vgpr9_vgpr10
	s_delay_alu instid0(VALU_DEP_1)
	v_cmp_ne_u32_e32 vcc_lo, 0, v2
	v_and_b32_e32 v2, 7, v34
	s_and_saveexec_b32 s17, vcc_lo
	s_cbranch_execz .LBB4_241
; %bb.238:                              ;   in Loop: Header=BB4_222 Depth=2
	s_delay_alu instid0(VALU_DEP_1)
	v_mad_u64_u32 v[11:12], null, v2, 24, v[6:7]
	v_ashrrev_i32_e32 v9, 31, v8
	flat_load_b32 v10, v[11:12]
	flat_store_b64 v[11:12], v[8:9] offset:8
	s_waitcnt vmcnt(0) lgkmcnt(1)
	v_cmp_ne_u32_e32 vcc_lo, 1, v10
	v_cmp_eq_u32_e64 s13, 1, v10
                                        ; implicit-def: $vgpr9_vgpr10
	s_delay_alu instid0(VALU_DEP_1)
	s_and_saveexec_b32 s18, s13
	s_cbranch_execz .LBB4_240
; %bb.239:                              ;   in Loop: Header=BB4_222 Depth=2
	flat_load_b32 v9, v[11:12] offset:4 glc
	s_waitcnt vmcnt(0) lgkmcnt(0)
	v_ashrrev_i32_e32 v10, 31, v9
.LBB4_240:                              ;   in Loop: Header=BB4_222 Depth=2
	s_or_b32 exec_lo, exec_lo, s18
	s_delay_alu instid0(SALU_CYCLE_1)
	s_or_not1_b32 s13, vcc_lo, exec_lo
.LBB4_241:                              ;   in Loop: Header=BB4_222 Depth=2
	s_or_b32 exec_lo, exec_lo, s17
	s_and_saveexec_b32 s17, s13
; %bb.242:                              ;   in Loop: Header=BB4_222 Depth=2
	v_mad_i64_i32 v[9:10], null, v2, v86, 0
; %bb.243:                              ;   in Loop: Header=BB4_222 Depth=2
	s_or_b32 exec_lo, exec_lo, s17
	s_delay_alu instid0(VALU_DEP_1) | instskip(SKIP_1) | instid1(VALU_DEP_3)
	v_add_co_u32 v9, vcc_lo, v36, v9
	v_and_b32_e32 v2, 0x2000, v30
	v_add_co_ci_u32_e32 v10, vcc_lo, v37, v10, vcc_lo
	s_mov_b32 s13, exec_lo
	ds_store_b64 v0, v[9:10] offset:784
	v_cmpx_ne_u32_e32 0, v2
	s_cbranch_execz .LBB4_245
; %bb.244:                              ;   in Loop: Header=BB4_222 Depth=2
	ds_load_b64 v[9:10], v0 offset:584
	s_waitcnt lgkmcnt(0)
	v_add_co_u32 v9, vcc_lo, v9, 1
	v_add_co_ci_u32_e32 v10, vcc_lo, 0, v10, vcc_lo
	ds_store_b64 v0, v[9:10] offset:584
.LBB4_245:                              ;   in Loop: Header=BB4_222 Depth=2
	s_or_b32 exec_lo, exec_lo, s13
	v_add_co_u32 v34, vcc_lo, v34, 2
	v_add_co_ci_u32_e32 v35, vcc_lo, 0, v35, vcc_lo
.LBB4_246:                              ;   in Loop: Header=BB4_222 Depth=2
	s_or_b32 exec_lo, exec_lo, s16
	s_and_saveexec_b32 s13, s3
	s_cbranch_execz .LBB4_268
; %bb.247:                              ;   in Loop: Header=BB4_222 Depth=2
	s_and_saveexec_b32 s16, s4
	s_delay_alu instid0(SALU_CYCLE_1)
	s_xor_b32 s16, exec_lo, s16
	s_cbranch_execz .LBB4_265
; %bb.248:                              ;   in Loop: Header=BB4_222 Depth=2
	s_and_saveexec_b32 s17, s1
	s_cbranch_execz .LBB4_264
; %bb.249:                              ;   in Loop: Header=BB4_222 Depth=2
	s_mov_b32 s19, exec_lo
	s_mov_b32 s18, exec_lo
	v_mbcnt_lo_u32_b32 v2, s19, 0
	s_waitcnt lgkmcnt(0)
	s_waitcnt_vscnt null, 0x0
	buffer_gl1_inv
	buffer_gl0_inv
	v_cmpx_eq_u32_e32 0, v2
	s_cbranch_execz .LBB4_251
; %bb.250:                              ;   in Loop: Header=BB4_222 Depth=2
	s_bcnt1_i32_b32 s19, s19
	s_delay_alu instid0(SALU_CYCLE_1)
	v_mov_b32_e32 v2, s19
	ds_add_u64 v0, v[2:3]
	s_cbranch_execnz .LBB4_1508
.LBB4_251:                              ;   in Loop: Header=BB4_222 Depth=2
	s_or_b32 exec_lo, exec_lo, s18
	s_cbranch_execnz .LBB4_1490
; %bb.252:                              ;   in Loop: Header=BB4_222 Depth=2
	ds_load_b64 v[9:10], v0
	v_add_co_u32 v48, vcc_lo, v48, v97
	v_add_co_ci_u32_e32 v49, vcc_lo, 0, v49, vcc_lo
	s_mov_b32 s18, exec_lo
	s_waitcnt lgkmcnt(0)
	s_delay_alu instid0(VALU_DEP_1)
	v_cmpx_lt_u64_e64 v[9:10], v[48:49]
	s_cbranch_execz .LBB4_263
; %bb.253:                              ;   in Loop: Header=BB4_222 Depth=2
	s_mov_b32 s19, 0
	s_mov_b32 s41, 0
                                        ; implicit-def: $sgpr35
                                        ; implicit-def: $sgpr40
	s_branch .LBB4_255
.LBB4_254:                              ;   in Loop: Header=BB4_255 Depth=3
	s_or_b32 exec_lo, exec_lo, s43
	s_delay_alu instid0(SALU_CYCLE_1) | instskip(NEXT) | instid1(SALU_CYCLE_1)
	s_and_b32 vcc_lo, exec_lo, vcc_lo
	s_or_b32 s19, vcc_lo, s19
	s_and_not1_b32 vcc_lo, s35, exec_lo
	s_and_b32 s35, s40, exec_lo
	s_delay_alu instid0(SALU_CYCLE_1)
	s_or_b32 s35, vcc_lo, s35
	s_and_not1_b32 exec_lo, exec_lo, s19
	s_cbranch_execz .LBB4_261
.LBB4_255:                              ;   Parent Loop BB4_51 Depth=1
                                        ;     Parent Loop BB4_222 Depth=2
                                        ; =>    This Inner Loop Header: Depth=3
	s_add_i32 s41, s41, 1
                                        ; implicit-def: $sgpr43
	s_delay_alu instid0(SALU_CYCLE_1) | instskip(SKIP_1) | instid1(SALU_CYCLE_1)
	s_cmpk_lg_i32 s41, 0x2710
	s_cselect_b32 s42, -1, 0
	s_and_b32 vcc_lo, exec_lo, s42
	s_cbranch_vccz .LBB4_259
.LBB4_256:                              ;   in Loop: Header=BB4_255 Depth=3
	s_and_not1_b32 s40, s40, exec_lo
	s_and_b32 s43, s43, exec_lo
	s_mov_b32 vcc_lo, -1
	s_or_b32 s40, s40, s43
	s_and_saveexec_b32 s43, s42
	s_cbranch_execz .LBB4_254
; %bb.257:                              ;   in Loop: Header=BB4_255 Depth=3
	s_sleep 1
	s_cbranch_execnz .LBB4_1538
; %bb.258:                              ;   in Loop: Header=BB4_255 Depth=3
	ds_load_b64 v[9:10], v0
	s_and_not1_b32 s40, s40, exec_lo
	s_waitcnt lgkmcnt(0)
	v_cmp_ge_u64_e32 vcc_lo, v[9:10], v[48:49]
	s_or_not1_b32 vcc_lo, vcc_lo, exec_lo
	s_branch .LBB4_254
.LBB4_259:                              ;   in Loop: Header=BB4_255 Depth=3
	s_cbranch_execnz .LBB4_1544
; %bb.260:                              ;   in Loop: Header=BB4_255 Depth=3
	ds_load_b64 v[9:10], v0
	s_and_not1_b32 s42, s42, exec_lo
	s_mov_b32 s41, 0
	s_mov_b32 s43, -1
	s_waitcnt lgkmcnt(0)
	flat_load_b32 v2, v[9:10] glc
	s_waitcnt vmcnt(0) lgkmcnt(0)
	buffer_gl1_inv
	buffer_gl0_inv
	v_cmp_eq_u32_e32 vcc_lo, 0, v2
	s_and_b32 vcc_lo, vcc_lo, exec_lo
	s_delay_alu instid0(SALU_CYCLE_1)
	s_or_b32 s42, s42, vcc_lo
	s_branch .LBB4_256
.LBB4_261:                              ;   in Loop: Header=BB4_222 Depth=2
	s_or_b32 exec_lo, exec_lo, s19
	s_and_saveexec_b32 s19, s35
	s_delay_alu instid0(SALU_CYCLE_1)
	s_xor_b32 s19, exec_lo, s19
	s_cbranch_execz .LBB4_263
; %bb.262:                              ;   in Loop: Header=BB4_222 Depth=2
	ds_store_b32 v0, v134
	s_cbranch_execnz .LBB4_1756
.LBB4_263:                              ;   in Loop: Header=BB4_222 Depth=2
	s_or_b32 exec_lo, exec_lo, s18
	;;#ASMSTART
	s_wakeup
	;;#ASMEND
.LBB4_264:                              ;   in Loop: Header=BB4_222 Depth=2
	s_or_b32 exec_lo, exec_lo, s17
.LBB4_265:                              ;   in Loop: Header=BB4_222 Depth=2
	s_and_not1_saveexec_b32 s16, s16
	s_cbranch_execz .LBB4_267
; %bb.266:                              ;   in Loop: Header=BB4_222 Depth=2
	s_waitcnt lgkmcnt(0)
	s_waitcnt_vscnt null, 0x0
	buffer_gl1_inv
	buffer_gl0_inv
	s_barrier
.LBB4_267:                              ;   in Loop: Header=BB4_222 Depth=2
	s_or_b32 exec_lo, exec_lo, s16
.LBB4_268:                              ;   in Loop: Header=BB4_222 Depth=2
	s_delay_alu instid0(SALU_CYCLE_1) | instskip(SKIP_1) | instid1(SALU_CYCLE_1)
	s_or_b32 exec_lo, exec_lo, s13
                                        ; implicit-def: $vgpr2
	s_and_saveexec_b32 s13, s7
	s_xor_b32 s16, exec_lo, s13
	s_cbranch_execz .LBB4_273
; %bb.269:                              ;   in Loop: Header=BB4_222 Depth=2
	s_cbranch_execnz .LBB4_1463
; %bb.270:                              ;   in Loop: Header=BB4_222 Depth=2
	ds_load_b32 v2, v0
	v_cmp_lt_i32_e32 vcc_lo, 0, v8
	s_waitcnt lgkmcnt(0)
	v_readfirstlane_b32 s13, v2
	v_and_b32_e32 v2, 16, v30
	s_delay_alu instid0(VALU_DEP_2) | instskip(NEXT) | instid1(VALU_DEP_1)
	s_cmp_eq_u32 s13, 0
	v_cmp_ne_u32_e64 s13, 0, v2
	s_cselect_b32 s17, -1, 0
	v_and_b32_e32 v2, 16, v30
	s_and_b32 s17, vcc_lo, s17
	s_delay_alu instid0(VALU_DEP_2) | instid1(SALU_CYCLE_1)
	s_and_b32 s17, s13, s17
	s_delay_alu instid0(SALU_CYCLE_1)
	s_and_saveexec_b32 s13, s17
	s_cbranch_execz .LBB4_272
; %bb.271:                              ;   in Loop: Header=BB4_222 Depth=2
	v_mov_b32_e32 v2, 1
	s_waitcnt_vscnt null, 0x0
	buffer_gl1_inv
	buffer_gl0_inv
.LBB4_272:                              ;   in Loop: Header=BB4_222 Depth=2
	s_or_b32 exec_lo, exec_lo, s13
.LBB4_273:                              ;   in Loop: Header=BB4_222 Depth=2
	s_and_not1_saveexec_b32 s13, s16
	s_cbranch_execz .LBB4_295
; %bb.274:                              ;   in Loop: Header=BB4_222 Depth=2
	s_and_saveexec_b32 s16, s4
	s_delay_alu instid0(SALU_CYCLE_1)
	s_xor_b32 s16, exec_lo, s16
	s_cbranch_execz .LBB4_292
; %bb.275:                              ;   in Loop: Header=BB4_222 Depth=2
	s_and_saveexec_b32 s17, s1
	s_cbranch_execz .LBB4_291
; %bb.276:                              ;   in Loop: Header=BB4_222 Depth=2
	s_mov_b32 s19, exec_lo
	s_mov_b32 s18, exec_lo
	v_mbcnt_lo_u32_b32 v2, s19, 0
	;;#ASMSTART
	s_waitcnt lgkmcnt(0) vmcnt(0)
	;;#ASMEND
	s_delay_alu instid0(VALU_DEP_1)
	v_cmpx_eq_u32_e32 0, v2
	s_cbranch_execz .LBB4_278
; %bb.277:                              ;   in Loop: Header=BB4_222 Depth=2
	s_bcnt1_i32_b32 s19, s19
	s_delay_alu instid0(SALU_CYCLE_1)
	v_mov_b32_e32 v2, s19
	ds_add_u64 v0, v[2:3]
	s_cbranch_execnz .LBB4_1526
.LBB4_278:                              ;   in Loop: Header=BB4_222 Depth=2
	s_or_b32 exec_lo, exec_lo, s18
	s_cbranch_execnz .LBB4_1506
; %bb.279:                              ;   in Loop: Header=BB4_222 Depth=2
	ds_load_b64 v[9:10], v0
	v_add_co_u32 v48, vcc_lo, v48, v97
	v_add_co_ci_u32_e32 v49, vcc_lo, 0, v49, vcc_lo
	s_mov_b32 s18, exec_lo
	s_waitcnt lgkmcnt(0)
	s_delay_alu instid0(VALU_DEP_1)
	v_cmpx_lt_u64_e64 v[9:10], v[48:49]
	s_cbranch_execz .LBB4_290
; %bb.280:                              ;   in Loop: Header=BB4_222 Depth=2
	s_mov_b32 s19, 0
	s_mov_b32 s41, 0
                                        ; implicit-def: $sgpr35
                                        ; implicit-def: $sgpr40
	s_branch .LBB4_282
.LBB4_281:                              ;   in Loop: Header=BB4_282 Depth=3
	s_or_b32 exec_lo, exec_lo, s43
	s_delay_alu instid0(SALU_CYCLE_1) | instskip(NEXT) | instid1(SALU_CYCLE_1)
	s_and_b32 vcc_lo, exec_lo, vcc_lo
	s_or_b32 s19, vcc_lo, s19
	s_and_not1_b32 vcc_lo, s35, exec_lo
	s_and_b32 s35, s40, exec_lo
	s_delay_alu instid0(SALU_CYCLE_1)
	s_or_b32 s35, vcc_lo, s35
	s_and_not1_b32 exec_lo, exec_lo, s19
	s_cbranch_execz .LBB4_288
.LBB4_282:                              ;   Parent Loop BB4_51 Depth=1
                                        ;     Parent Loop BB4_222 Depth=2
                                        ; =>    This Inner Loop Header: Depth=3
	s_add_i32 s41, s41, 1
                                        ; implicit-def: $sgpr43
	s_delay_alu instid0(SALU_CYCLE_1) | instskip(SKIP_1) | instid1(SALU_CYCLE_1)
	s_cmpk_lg_i32 s41, 0x2710
	s_cselect_b32 s42, -1, 0
	s_and_b32 vcc_lo, exec_lo, s42
	s_cbranch_vccz .LBB4_286
.LBB4_283:                              ;   in Loop: Header=BB4_282 Depth=3
	s_and_not1_b32 s40, s40, exec_lo
	s_and_b32 s43, s43, exec_lo
	s_mov_b32 vcc_lo, -1
	s_or_b32 s40, s40, s43
	s_and_saveexec_b32 s43, s42
	s_cbranch_execz .LBB4_281
; %bb.284:                              ;   in Loop: Header=BB4_282 Depth=3
	s_sleep 1
	s_cbranch_execnz .LBB4_1550
; %bb.285:                              ;   in Loop: Header=BB4_282 Depth=3
	ds_load_b64 v[9:10], v0
	s_and_not1_b32 s40, s40, exec_lo
	s_waitcnt lgkmcnt(0)
	v_cmp_ge_u64_e32 vcc_lo, v[9:10], v[48:49]
	s_or_not1_b32 vcc_lo, vcc_lo, exec_lo
	s_branch .LBB4_281
.LBB4_286:                              ;   in Loop: Header=BB4_282 Depth=3
	s_cbranch_execnz .LBB4_1562
; %bb.287:                              ;   in Loop: Header=BB4_282 Depth=3
	ds_load_b64 v[9:10], v0
	s_and_not1_b32 s42, s42, exec_lo
	s_mov_b32 s41, 0
	s_mov_b32 s43, -1
	s_waitcnt lgkmcnt(0)
	s_waitcnt_vscnt null, 0x0
	flat_load_b32 v2, v[9:10] glc
	s_waitcnt vmcnt(0) lgkmcnt(0)
	buffer_gl1_inv
	buffer_gl0_inv
	v_cmp_eq_u32_e32 vcc_lo, 0, v2
	s_and_b32 vcc_lo, vcc_lo, exec_lo
	s_delay_alu instid0(SALU_CYCLE_1)
	s_or_b32 s42, s42, vcc_lo
	s_branch .LBB4_283
.LBB4_288:                              ;   in Loop: Header=BB4_222 Depth=2
	s_or_b32 exec_lo, exec_lo, s19
	s_and_saveexec_b32 s19, s35
	s_delay_alu instid0(SALU_CYCLE_1)
	s_xor_b32 s19, exec_lo, s19
	s_cbranch_execz .LBB4_290
; %bb.289:                              ;   in Loop: Header=BB4_222 Depth=2
	ds_store_b32 v0, v134
	s_cbranch_execnz .LBB4_1776
.LBB4_290:                              ;   in Loop: Header=BB4_222 Depth=2
	s_or_b32 exec_lo, exec_lo, s18
	;;#ASMSTART
	s_wakeup
	;;#ASMEND
.LBB4_291:                              ;   in Loop: Header=BB4_222 Depth=2
	s_or_b32 exec_lo, exec_lo, s17
.LBB4_292:                              ;   in Loop: Header=BB4_222 Depth=2
	s_and_not1_saveexec_b32 s16, s16
	s_cbranch_execz .LBB4_294
; %bb.293:                              ;   in Loop: Header=BB4_222 Depth=2
	;;#ASMSTART
	s_waitcnt lgkmcnt(0) vmcnt(0)
	;;#ASMEND
	s_waitcnt lgkmcnt(0)
	s_waitcnt_vscnt null, 0x0
	s_barrier
.LBB4_294:                              ;   in Loop: Header=BB4_222 Depth=2
	s_or_b32 exec_lo, exec_lo, s16
	v_and_b32_e32 v2, 16, v30
.LBB4_295:                              ;   in Loop: Header=BB4_222 Depth=2
	s_or_b32 exec_lo, exec_lo, s13
	s_delay_alu instid0(SALU_CYCLE_1) | instskip(NEXT) | instid1(VALU_DEP_1)
	s_mov_b32 s13, exec_lo
	v_cmpx_ne_u32_e32 0, v2
	s_cbranch_execz .LBB4_299
; %bb.296:                              ;   in Loop: Header=BB4_222 Depth=2
	s_and_saveexec_b32 s16, s11
	s_cbranch_execz .LBB4_298
; %bb.297:                              ;   in Loop: Header=BB4_222 Depth=2
	s_waitcnt lgkmcnt(0)
	s_waitcnt_vscnt null, 0x0
	flat_store_b32 v[38:39], v134
.LBB4_298:                              ;   in Loop: Header=BB4_222 Depth=2
	s_or_b32 exec_lo, exec_lo, s16
	v_add_co_u32 v34, vcc_lo, v34, 2
	v_add_co_ci_u32_e32 v35, vcc_lo, 0, v35, vcc_lo
	s_waitcnt lgkmcnt(0)
	s_waitcnt_vscnt null, 0x0
	flat_store_b64 v[32:33], v[34:35]
.LBB4_299:                              ;   in Loop: Header=BB4_222 Depth=2
	s_or_b32 exec_lo, exec_lo, s13
	v_add_nc_u32_e32 v17, v8, v17
	s_mov_b32 s13, 0
	s_and_not1_b32 exec_lo, exec_lo, s15
	s_cbranch_execnz .LBB4_222
; %bb.300:                              ;   in Loop: Header=BB4_51 Depth=1
	s_or_b32 exec_lo, exec_lo, s15
.LBB4_301:                              ;   in Loop: Header=BB4_51 Depth=1
	s_delay_alu instid0(SALU_CYCLE_1) | instskip(NEXT) | instid1(SALU_CYCLE_1)
	s_or_b32 exec_lo, exec_lo, s14
	s_and_not1_b32 vcc_lo, exec_lo, s39
	s_cbranch_vccnz .LBB4_556
; %bb.302:                              ;   in Loop: Header=BB4_51 Depth=1
	s_mov_b32 s15, 2
.LBB4_303:                              ;   Parent Loop BB4_51 Depth=1
                                        ; =>  This Loop Header: Depth=2
                                        ;       Child Loop BB4_305 Depth 3
                                        ;         Child Loop BB4_314 Depth 4
                                        ;         Child Loop BB4_346 Depth 4
	;; [unrolled: 1-line block ×9, first 2 shown]
                                        ;       Child Loop BB4_473 Depth 3
                                        ;         Child Loop BB4_479 Depth 4
                                        ;         Child Loop BB4_509 Depth 4
                                        ;         Child Loop BB4_531 Depth 4
	s_delay_alu instid0(SALU_CYCLE_1) | instskip(SKIP_4) | instid1(SALU_CYCLE_1)
	s_sub_i32 s13, s31, s15
	s_mov_b32 s17, 0
	s_cmp_le_i32 s23, s13
	v_mov_b32_e32 v19, 0
	s_cselect_b32 s14, s23, 0
	s_sub_i32 s13, s13, s14
	s_delay_alu instid0(SALU_CYCLE_1) | instskip(SKIP_3) | instid1(VALU_DEP_1)
	s_ashr_i32 s14, s13, 31
	v_mul_lo_u32 v2, v65, s13
	v_mad_u64_u32 v[10:11], null, v64, s13, 0
	v_mul_lo_u32 v8, v64, s14
	v_add3_u32 v11, v11, v8, v2
	s_delay_alu instid0(VALU_DEP_3) | instskip(NEXT) | instid1(VALU_DEP_2)
	v_sub_co_u32 v8, vcc_lo, v66, v10
	v_sub_co_ci_u32_e32 v9, vcc_lo, v67, v11, vcc_lo
	s_delay_alu instid0(VALU_DEP_1) | instskip(SKIP_1) | instid1(VALU_DEP_1)
	v_cmp_lt_i64_e32 vcc_lo, v[64:65], v[8:9]
	v_cndmask_b32_e32 v8, v8, v64, vcc_lo
	v_max_i32_e32 v18, 0, v8
	s_delay_alu instid0(VALU_DEP_1) | instskip(NEXT) | instid1(VALU_DEP_1)
	v_add_nc_u32_e32 v2, 31, v18
	v_lshrrev_b32_e32 v2, 1, v2
	s_delay_alu instid0(VALU_DEP_1) | instskip(SKIP_2) | instid1(VALU_DEP_3)
	v_and_b32_e32 v9, 0x3ffffff0, v2
	v_cmp_lt_i32_e32 vcc_lo, 0, v8
	v_mov_b32_e32 v2, 0
	v_max_i32_e32 v8, s25, v9
	s_and_b32 s13, s27, vcc_lo
	s_delay_alu instid0(SALU_CYCLE_1)
	s_and_saveexec_b32 s16, s13
	s_cbranch_execz .LBB4_471
; %bb.304:                              ;   in Loop: Header=BB4_303 Depth=2
	v_mov_b32_e32 v19, 0
	s_mov_b32 s19, 1
	s_mov_b32 s18, -1
.LBB4_305:                              ;   Parent Loop BB4_51 Depth=1
                                        ;     Parent Loop BB4_303 Depth=2
                                        ; =>    This Loop Header: Depth=3
                                        ;         Child Loop BB4_314 Depth 4
                                        ;         Child Loop BB4_346 Depth 4
	;; [unrolled: 1-line block ×9, first 2 shown]
	s_and_saveexec_b32 s13, s0
	s_cbranch_execz .LBB4_308
; %bb.306:                              ;   in Loop: Header=BB4_305 Depth=3
	s_cbranch_execnz .LBB4_1473
; %bb.307:                              ;   in Loop: Header=BB4_305 Depth=3
	ds_load_b64 v[12:13], v0
	s_waitcnt lgkmcnt(0)
	v_add_co_u32 v2, vcc_lo, v12, v135
	v_add_co_ci_u32_e32 v9, vcc_lo, v13, v144, vcc_lo
	v_ashrrev_i32_e32 v13, 31, v19
	s_delay_alu instid0(VALU_DEP_3) | instskip(NEXT) | instid1(VALU_DEP_3)
	v_add_co_u32 v2, vcc_lo, v2, v10
	v_add_co_ci_u32_e32 v9, vcc_lo, v9, v11, vcc_lo
	s_delay_alu instid0(VALU_DEP_2) | instskip(NEXT) | instid1(VALU_DEP_2)
	v_add_co_u32 v12, vcc_lo, v2, v19
	v_add_co_ci_u32_e32 v13, vcc_lo, v9, v13, vcc_lo
	v_mov_b32_e32 v2, v3
	ds_store_b64 v0, v[12:13]
	ds_store_b64 v0, v[2:3]
.LBB4_308:                              ;   in Loop: Header=BB4_305 Depth=3
	s_or_b32 exec_lo, exec_lo, s13
	v_and_b32_e32 v2, 12, v30
	s_mov_b32 s14, -1
	s_mov_b32 s13, exec_lo
	s_delay_alu instid0(VALU_DEP_1)
	v_cmpx_ne_u32_e32 0, v2
	s_cbranch_execz .LBB4_322
; %bb.309:                              ;   in Loop: Header=BB4_305 Depth=3
	v_dual_mov_b32 v9, 1 :: v_dual_and_b32 v2, 8, v30
	s_mov_b32 s14, exec_lo
	s_delay_alu instid0(VALU_DEP_1) | instskip(SKIP_3) | instid1(VALU_DEP_1)
	v_add_co_u32 v14, vcc_lo, v50, v2
	v_add_co_ci_u32_e32 v15, vcc_lo, 0, v51, vcc_lo
	v_add_co_u32 v12, vcc_lo, v34, 2
	v_add_co_ci_u32_e32 v13, vcc_lo, 0, v35, vcc_lo
	v_cmpx_lt_u64_e64 v[14:15], v[12:13]
	s_cbranch_execz .LBB4_321
; %bb.310:                              ;   in Loop: Header=BB4_305 Depth=3
	v_mov_b32_e32 v9, 0
	s_mov_b32 s35, 0
                                        ; implicit-def: $sgpr40
	s_branch .LBB4_314
.LBB4_311:                              ;   in Loop: Header=BB4_314 Depth=4
	s_or_b32 exec_lo, exec_lo, s44
	v_mov_b32_e32 v14, 0
	s_or_not1_b32 s43, s43, exec_lo
.LBB4_312:                              ;   in Loop: Header=BB4_314 Depth=4
	s_or_b32 exec_lo, exec_lo, s42
	s_delay_alu instid0(VALU_DEP_1) | instskip(SKIP_2) | instid1(SALU_CYCLE_1)
	v_mov_b32_e32 v9, v14
	s_and_not1_b32 vcc_lo, s40, exec_lo
	s_and_b32 s40, s43, exec_lo
	s_or_b32 s40, vcc_lo, s40
.LBB4_313:                              ;   in Loop: Header=BB4_314 Depth=4
	s_or_b32 exec_lo, exec_lo, s41
	s_waitcnt vmcnt(0) lgkmcnt(0)
	v_add_co_u32 v14, vcc_lo, v50, v2
	v_add_co_ci_u32_e32 v15, vcc_lo, 0, v51, vcc_lo
	s_xor_b32 s41, s40, -1
	s_delay_alu instid0(VALU_DEP_1) | instskip(SKIP_1) | instid1(SALU_CYCLE_1)
	v_cmp_ge_u64_e32 vcc_lo, v[14:15], v[12:13]
	s_or_b32 vcc_lo, s41, vcc_lo
	s_and_b32 vcc_lo, exec_lo, vcc_lo
	s_delay_alu instid0(SALU_CYCLE_1) | instskip(NEXT) | instid1(SALU_CYCLE_1)
	s_or_b32 s35, vcc_lo, s35
	s_and_not1_b32 exec_lo, exec_lo, s35
	s_cbranch_execz .LBB4_320
.LBB4_314:                              ;   Parent Loop BB4_51 Depth=1
                                        ;     Parent Loop BB4_303 Depth=2
                                        ;       Parent Loop BB4_305 Depth=3
                                        ; =>      This Inner Loop Header: Depth=4
	s_sleep 1
	flat_load_b64 v[50:51], v[32:33] glc
	v_and_b32_e32 v14, 64, v30
	s_and_not1_b32 s40, s40, exec_lo
	s_mov_b32 s41, exec_lo
	s_delay_alu instid0(VALU_DEP_1)
	v_cmpx_eq_u32_e32 0, v14
	s_cbranch_execz .LBB4_313
; %bb.315:                              ;   in Loop: Header=BB4_314 Depth=4
	v_add_nc_u32_e32 v14, 1, v9
	s_mov_b32 s43, -1
	s_mov_b32 s42, exec_lo
	v_cmpx_lt_i32_e32 0x270e, v9
	s_cbranch_execz .LBB4_312
; %bb.316:                              ;   in Loop: Header=BB4_314 Depth=4
	s_cbranch_execnz .LBB4_1504
; %bb.317:                              ;   in Loop: Header=BB4_314 Depth=4
	ds_load_b64 v[14:15], v0
	s_mov_b32 s44, exec_lo
	s_waitcnt vmcnt(0) lgkmcnt(0)
	s_waitcnt_vscnt null, 0x0
	flat_load_b32 v9, v[14:15] glc
	s_waitcnt vmcnt(0) lgkmcnt(0)
	buffer_gl1_inv
	buffer_gl0_inv
	v_cmpx_ne_u32_e32 0, v9
	s_cbranch_execz .LBB4_311
; %bb.318:                              ;   in Loop: Header=BB4_314 Depth=4
	ds_store_b32 v0, v9
	s_cbranch_execnz .LBB4_1554
; %bb.319:                              ;   in Loop: Header=BB4_314 Depth=4
	v_or_b32_e32 v30, 64, v30
	s_xor_b32 s43, exec_lo, -1
	s_branch .LBB4_311
.LBB4_320:                              ;   in Loop: Header=BB4_305 Depth=3
	s_or_b32 exec_lo, exec_lo, s35
	v_and_b32_e32 v9, 12, v30
.LBB4_321:                              ;   in Loop: Header=BB4_305 Depth=3
	s_or_b32 exec_lo, exec_lo, s14
	s_delay_alu instid0(VALU_DEP_1)
	v_cmp_eq_u32_e32 vcc_lo, 0, v9
	;;#ASMSTART
	s_wakeup
	;;#ASMEND
	s_or_not1_b32 s14, vcc_lo, exec_lo
.LBB4_322:                              ;   in Loop: Header=BB4_305 Depth=3
	s_or_b32 exec_lo, exec_lo, s13
	v_sub_nc_u32_e32 v2, v18, v19
	s_xor_b32 s13, s14, -1
	s_delay_alu instid0(VALU_DEP_1)
	v_min_i32_e32 v8, v8, v2
	s_and_saveexec_b32 s14, s13
	s_cbranch_execz .LBB4_337
; %bb.323:                              ;   in Loop: Header=BB4_305 Depth=3
	v_and_b32_e32 v2, 0x108, v30
	s_mov_b32 s13, exec_lo
	s_delay_alu instid0(VALU_DEP_1)
	v_cmpx_ne_u32_e32 0x108, v2
	s_xor_b32 s13, exec_lo, s13
                                        ; implicit-def: $vgpr12_vgpr13
; %bb.324:                              ;   in Loop: Header=BB4_305 Depth=3
	v_and_b32_e32 v12, 7, v34
; %bb.325:                              ;   in Loop: Header=BB4_305 Depth=3
	s_and_not1_saveexec_b32 s13, s13
	s_cbranch_execz .LBB4_327
; %bb.326:                              ;   in Loop: Header=BB4_305 Depth=3
	v_and_b32_e32 v12, 7, v34
	v_ashrrev_i32_e32 v9, 31, v8
	s_delay_alu instid0(VALU_DEP_2)
	v_mad_u64_u32 v[13:14], null, v12, 24, v[6:7]
	flat_store_b64 v[13:14], v[8:9] offset:8
.LBB4_327:                              ;   in Loop: Header=BB4_305 Depth=3
	s_or_b32 exec_lo, exec_lo, s13
	v_and_b32_e32 v2, 0x100, v30
	s_mov_b32 s13, -1
	s_mov_b32 s35, exec_lo
                                        ; implicit-def: $vgpr13_vgpr14
	s_delay_alu instid0(VALU_DEP_1)
	v_cmpx_ne_u32_e32 0, v2
	s_cbranch_execnz .LBB4_330
; %bb.328:                              ;   in Loop: Header=BB4_305 Depth=3
	s_or_b32 exec_lo, exec_lo, s35
	s_and_saveexec_b32 vcc_lo, s13
	s_cbranch_execnz .LBB4_333
.LBB4_329:                              ;   in Loop: Header=BB4_305 Depth=3
	s_or_b32 exec_lo, exec_lo, vcc_lo
	s_cbranch_execnz .LBB4_1500
	s_branch .LBB4_334
.LBB4_330:                              ;   in Loop: Header=BB4_305 Depth=3
	v_mad_u64_u32 v[15:16], null, v12, 24, v[6:7]
	s_mov_b32 s40, exec_lo
	s_delay_alu instid0(VALU_DEP_1) | instskip(NEXT) | instid1(VALU_DEP_1)
	v_mov_b32_e32 v2, v16
	v_mad_u64_u32 v[13:14], null, v3, 24, v[2:3]
	s_delay_alu instid0(VALU_DEP_1)
	v_mov_b32_e32 v16, v13
                                        ; implicit-def: $vgpr13_vgpr14
	flat_load_b32 v2, v[15:16]
	s_waitcnt vmcnt(0) lgkmcnt(0)
	v_cmp_ne_u32_e32 vcc_lo, 1, v2
	v_cmpx_eq_u32_e32 1, v2
	s_cbranch_execz .LBB4_332
; %bb.331:                              ;   in Loop: Header=BB4_305 Depth=3
	flat_load_b32 v13, v[15:16] offset:4 glc
	s_waitcnt vmcnt(0) lgkmcnt(0)
	v_ashrrev_i32_e32 v14, 31, v13
.LBB4_332:                              ;   in Loop: Header=BB4_305 Depth=3
	s_or_b32 exec_lo, exec_lo, s40
	s_delay_alu instid0(SALU_CYCLE_1)
	s_or_not1_b32 s13, vcc_lo, exec_lo
	s_or_b32 exec_lo, exec_lo, s35
	s_and_saveexec_b32 vcc_lo, s13
	s_cbranch_execz .LBB4_329
.LBB4_333:                              ;   in Loop: Header=BB4_305 Depth=3
	v_mul_lo_u32 v2, v3, v86
	v_mul_lo_u32 v9, v12, v96
	v_mad_u64_u32 v[13:14], null, v12, v86, 0
	s_delay_alu instid0(VALU_DEP_1)
	v_add3_u32 v14, v14, v9, v2
	s_or_b32 exec_lo, exec_lo, vcc_lo
	s_cbranch_execnz .LBB4_1500
.LBB4_334:                              ;   in Loop: Header=BB4_305 Depth=3
	s_delay_alu instid0(VALU_DEP_2)
	v_add_co_u32 v12, vcc_lo, v36, v13
	v_and_b32_e32 v2, 0x2000, v30
	v_add_co_ci_u32_e32 v13, vcc_lo, v37, v14, vcc_lo
	s_mov_b32 s13, exec_lo
	ds_store_b64 v0, v[12:13]
	v_cmpx_ne_u32_e32 0, v2
	s_cbranch_execz .LBB4_336
; %bb.335:                              ;   in Loop: Header=BB4_305 Depth=3
	ds_load_b64 v[12:13], v0 offset:584
	s_waitcnt lgkmcnt(0)
	v_add_co_u32 v12, vcc_lo, v12, 1
	v_add_co_ci_u32_e32 v13, vcc_lo, 0, v13, vcc_lo
	ds_store_b64 v0, v[12:13] offset:584
.LBB4_336:                              ;   in Loop: Header=BB4_305 Depth=3
	s_or_b32 exec_lo, exec_lo, s13
	v_add_co_u32 v34, vcc_lo, v34, 2
	v_add_co_ci_u32_e32 v35, vcc_lo, 0, v35, vcc_lo
.LBB4_337:                              ;   in Loop: Header=BB4_305 Depth=3
	s_or_b32 exec_lo, exec_lo, s14
	s_and_saveexec_b32 s13, s3
	s_cbranch_execz .LBB4_359
; %bb.338:                              ;   in Loop: Header=BB4_305 Depth=3
	s_and_saveexec_b32 s14, s4
	s_delay_alu instid0(SALU_CYCLE_1)
	s_xor_b32 s14, exec_lo, s14
	s_cbranch_execz .LBB4_356
; %bb.339:                              ;   in Loop: Header=BB4_305 Depth=3
	s_and_saveexec_b32 s35, s1
	s_cbranch_execz .LBB4_355
; %bb.340:                              ;   in Loop: Header=BB4_305 Depth=3
	s_mov_b32 s41, exec_lo
	s_mov_b32 s40, exec_lo
	v_mbcnt_lo_u32_b32 v2, s41, 0
	s_waitcnt lgkmcnt(0)
	s_waitcnt_vscnt null, 0x0
	buffer_gl1_inv
	buffer_gl0_inv
	v_cmpx_eq_u32_e32 0, v2
	s_cbranch_execz .LBB4_342
; %bb.341:                              ;   in Loop: Header=BB4_305 Depth=3
	s_bcnt1_i32_b32 vcc_lo, s41
	s_delay_alu instid0(SALU_CYCLE_1)
	v_mov_b32_e32 v2, vcc_lo
	ds_add_u64 v0, v[2:3]
	s_cbranch_execnz .LBB4_1610
.LBB4_342:                              ;   in Loop: Header=BB4_305 Depth=3
	s_or_b32 exec_lo, exec_lo, s40
	s_cbranch_execnz .LBB4_1576
; %bb.343:                              ;   in Loop: Header=BB4_305 Depth=3
	ds_load_b64 v[12:13], v0
	v_add_co_u32 v48, vcc_lo, v48, v97
	v_add_co_ci_u32_e32 v49, vcc_lo, 0, v49, vcc_lo
	s_mov_b32 s40, exec_lo
	s_waitcnt lgkmcnt(0)
	s_delay_alu instid0(VALU_DEP_1)
	v_cmpx_lt_u64_e64 v[12:13], v[48:49]
	s_cbranch_execz .LBB4_354
; %bb.344:                              ;   in Loop: Header=BB4_305 Depth=3
	s_mov_b32 s41, 0
	s_mov_b32 s44, 0
                                        ; implicit-def: $sgpr42
                                        ; implicit-def: $sgpr43
	s_branch .LBB4_346
.LBB4_345:                              ;   in Loop: Header=BB4_346 Depth=4
	s_or_b32 exec_lo, exec_lo, s46
	s_delay_alu instid0(SALU_CYCLE_1) | instskip(NEXT) | instid1(SALU_CYCLE_1)
	s_and_b32 vcc_lo, exec_lo, vcc_lo
	s_or_b32 s41, vcc_lo, s41
	s_and_not1_b32 vcc_lo, s42, exec_lo
	s_and_b32 s42, s43, exec_lo
	s_delay_alu instid0(SALU_CYCLE_1)
	s_or_b32 s42, vcc_lo, s42
	s_and_not1_b32 exec_lo, exec_lo, s41
	s_cbranch_execz .LBB4_352
.LBB4_346:                              ;   Parent Loop BB4_51 Depth=1
                                        ;     Parent Loop BB4_303 Depth=2
                                        ;       Parent Loop BB4_305 Depth=3
                                        ; =>      This Inner Loop Header: Depth=4
	s_add_i32 s44, s44, 1
                                        ; implicit-def: $sgpr46
	s_delay_alu instid0(SALU_CYCLE_1) | instskip(SKIP_1) | instid1(SALU_CYCLE_1)
	s_cmpk_lg_i32 s44, 0x2710
	s_cselect_b32 s45, -1, 0
	s_and_b32 vcc_lo, exec_lo, s45
	s_cbranch_vccz .LBB4_350
.LBB4_347:                              ;   in Loop: Header=BB4_346 Depth=4
	s_and_not1_b32 s43, s43, exec_lo
	s_and_b32 s46, s46, exec_lo
	s_mov_b32 vcc_lo, -1
	s_or_b32 s43, s43, s46
	s_and_saveexec_b32 s46, s45
	s_cbranch_execz .LBB4_345
; %bb.348:                              ;   in Loop: Header=BB4_346 Depth=4
	s_sleep 1
	s_cbranch_execnz .LBB4_1656
; %bb.349:                              ;   in Loop: Header=BB4_346 Depth=4
	ds_load_b64 v[12:13], v0
	s_and_not1_b32 s43, s43, exec_lo
	s_waitcnt lgkmcnt(0)
	v_cmp_ge_u64_e32 vcc_lo, v[12:13], v[48:49]
	s_or_not1_b32 vcc_lo, vcc_lo, exec_lo
	s_branch .LBB4_345
.LBB4_350:                              ;   in Loop: Header=BB4_346 Depth=4
	s_cbranch_execnz .LBB4_1668
; %bb.351:                              ;   in Loop: Header=BB4_346 Depth=4
	ds_load_b64 v[12:13], v0
	s_and_not1_b32 s45, s45, exec_lo
	s_mov_b32 s44, 0
	s_mov_b32 s46, -1
	s_waitcnt lgkmcnt(0)
	flat_load_b32 v2, v[12:13] glc
	s_waitcnt vmcnt(0) lgkmcnt(0)
	buffer_gl1_inv
	buffer_gl0_inv
	v_cmp_eq_u32_e32 vcc_lo, 0, v2
	s_and_b32 vcc_lo, vcc_lo, exec_lo
	s_delay_alu instid0(SALU_CYCLE_1)
	s_or_b32 s45, s45, vcc_lo
	s_branch .LBB4_347
.LBB4_352:                              ;   in Loop: Header=BB4_305 Depth=3
	s_or_b32 exec_lo, exec_lo, s41
	s_and_saveexec_b32 vcc_lo, s42
	s_delay_alu instid0(SALU_CYCLE_1)
	s_xor_b32 vcc_lo, exec_lo, vcc_lo
	s_cbranch_execz .LBB4_354
; %bb.353:                              ;   in Loop: Header=BB4_305 Depth=3
	ds_store_b32 v0, v134
	s_cbranch_execnz .LBB4_1864
.LBB4_354:                              ;   in Loop: Header=BB4_305 Depth=3
	s_or_b32 exec_lo, exec_lo, s40
	;;#ASMSTART
	s_wakeup
	;;#ASMEND
.LBB4_355:                              ;   in Loop: Header=BB4_305 Depth=3
	s_or_b32 exec_lo, exec_lo, s35
.LBB4_356:                              ;   in Loop: Header=BB4_305 Depth=3
	s_and_not1_saveexec_b32 s14, s14
	s_cbranch_execz .LBB4_358
; %bb.357:                              ;   in Loop: Header=BB4_305 Depth=3
	s_waitcnt lgkmcnt(0)
	s_waitcnt_vscnt null, 0x0
	buffer_gl1_inv
	buffer_gl0_inv
	s_barrier
.LBB4_358:                              ;   in Loop: Header=BB4_305 Depth=3
	s_or_b32 exec_lo, exec_lo, s14
.LBB4_359:                              ;   in Loop: Header=BB4_305 Depth=3
	s_delay_alu instid0(SALU_CYCLE_1)
	s_or_b32 exec_lo, exec_lo, s13
	s_cbranch_execnz .LBB4_1479
; %bb.360:                              ;   in Loop: Header=BB4_305 Depth=3
	ds_load_b32 v12, v0
	v_and_b32_e32 v2, 0x4000, v30
	s_xor_b32 s13, s2, -1
	s_delay_alu instid0(VALU_DEP_1) | instskip(SKIP_1) | instid1(SALU_CYCLE_1)
	v_cmp_ne_u32_e32 vcc_lo, 0, v2
	s_and_b32 s14, s13, vcc_lo
	s_and_saveexec_b32 s13, s14
	s_cbranch_execz .LBB4_382
; %bb.361:                              ;   in Loop: Header=BB4_305 Depth=3
	s_and_saveexec_b32 s14, s4
	s_delay_alu instid0(SALU_CYCLE_1)
	s_xor_b32 s14, exec_lo, s14
	s_cbranch_execz .LBB4_379
; %bb.362:                              ;   in Loop: Header=BB4_305 Depth=3
	s_and_saveexec_b32 s35, s1
	s_cbranch_execz .LBB4_378
; %bb.363:                              ;   in Loop: Header=BB4_305 Depth=3
	s_mov_b32 s41, exec_lo
	s_mov_b32 s40, exec_lo
	v_mbcnt_lo_u32_b32 v2, s41, 0
	s_waitcnt lgkmcnt(0)
	s_waitcnt_vscnt null, 0x0
	buffer_gl1_inv
	buffer_gl0_inv
	v_cmpx_eq_u32_e32 0, v2
	s_cbranch_execz .LBB4_365
; %bb.364:                              ;   in Loop: Header=BB4_305 Depth=3
	s_bcnt1_i32_b32 vcc_lo, s41
	s_delay_alu instid0(SALU_CYCLE_1)
	v_mov_b32_e32 v2, vcc_lo
	ds_add_u64 v0, v[2:3]
	s_cbranch_execnz .LBB4_1642
.LBB4_365:                              ;   in Loop: Header=BB4_305 Depth=3
	s_or_b32 exec_lo, exec_lo, s40
	s_cbranch_execnz .LBB4_1632
; %bb.366:                              ;   in Loop: Header=BB4_305 Depth=3
	ds_load_b64 v[13:14], v0
	v_add_co_u32 v48, vcc_lo, v48, v97
	v_add_co_ci_u32_e32 v49, vcc_lo, 0, v49, vcc_lo
	s_mov_b32 s40, exec_lo
	s_waitcnt lgkmcnt(0)
	s_delay_alu instid0(VALU_DEP_1)
	v_cmpx_lt_u64_e64 v[13:14], v[48:49]
	s_cbranch_execz .LBB4_377
; %bb.367:                              ;   in Loop: Header=BB4_305 Depth=3
	s_mov_b32 s41, 0
	s_mov_b32 s44, 0
                                        ; implicit-def: $sgpr42
                                        ; implicit-def: $sgpr43
	s_branch .LBB4_369
.LBB4_368:                              ;   in Loop: Header=BB4_369 Depth=4
	s_or_b32 exec_lo, exec_lo, s46
	s_delay_alu instid0(SALU_CYCLE_1) | instskip(NEXT) | instid1(SALU_CYCLE_1)
	s_and_b32 vcc_lo, exec_lo, vcc_lo
	s_or_b32 s41, vcc_lo, s41
	s_and_not1_b32 vcc_lo, s42, exec_lo
	s_and_b32 s42, s43, exec_lo
	s_delay_alu instid0(SALU_CYCLE_1)
	s_or_b32 s42, vcc_lo, s42
	s_and_not1_b32 exec_lo, exec_lo, s41
	s_cbranch_execz .LBB4_375
.LBB4_369:                              ;   Parent Loop BB4_51 Depth=1
                                        ;     Parent Loop BB4_303 Depth=2
                                        ;       Parent Loop BB4_305 Depth=3
                                        ; =>      This Inner Loop Header: Depth=4
	s_add_i32 s44, s44, 1
                                        ; implicit-def: $sgpr46
	s_delay_alu instid0(SALU_CYCLE_1) | instskip(SKIP_1) | instid1(SALU_CYCLE_1)
	s_cmpk_lg_i32 s44, 0x2710
	s_cselect_b32 s45, -1, 0
	s_and_b32 vcc_lo, exec_lo, s45
	s_cbranch_vccz .LBB4_373
.LBB4_370:                              ;   in Loop: Header=BB4_369 Depth=4
	s_and_not1_b32 s43, s43, exec_lo
	s_and_b32 s46, s46, exec_lo
	s_mov_b32 vcc_lo, -1
	s_or_b32 s43, s43, s46
	s_and_saveexec_b32 s46, s45
	s_cbranch_execz .LBB4_368
; %bb.371:                              ;   in Loop: Header=BB4_369 Depth=4
	s_sleep 1
	s_cbranch_execnz .LBB4_1708
; %bb.372:                              ;   in Loop: Header=BB4_369 Depth=4
	ds_load_b64 v[13:14], v0
	s_and_not1_b32 s43, s43, exec_lo
	s_waitcnt lgkmcnt(0)
	v_cmp_ge_u64_e32 vcc_lo, v[13:14], v[48:49]
	s_or_not1_b32 vcc_lo, vcc_lo, exec_lo
	s_branch .LBB4_368
.LBB4_373:                              ;   in Loop: Header=BB4_369 Depth=4
	s_cbranch_execnz .LBB4_1722
; %bb.374:                              ;   in Loop: Header=BB4_369 Depth=4
	ds_load_b64 v[13:14], v0
	s_and_not1_b32 s45, s45, exec_lo
	s_mov_b32 s44, 0
	s_mov_b32 s46, -1
	s_waitcnt lgkmcnt(0)
	flat_load_b32 v2, v[13:14] glc
	s_waitcnt vmcnt(0) lgkmcnt(0)
	buffer_gl1_inv
	buffer_gl0_inv
	v_cmp_eq_u32_e32 vcc_lo, 0, v2
	s_and_b32 vcc_lo, vcc_lo, exec_lo
	s_delay_alu instid0(SALU_CYCLE_1)
	s_or_b32 s45, s45, vcc_lo
	s_branch .LBB4_370
.LBB4_375:                              ;   in Loop: Header=BB4_305 Depth=3
	s_or_b32 exec_lo, exec_lo, s41
	s_and_saveexec_b32 vcc_lo, s42
	s_delay_alu instid0(SALU_CYCLE_1)
	s_xor_b32 vcc_lo, exec_lo, vcc_lo
	s_cbranch_execz .LBB4_377
; %bb.376:                              ;   in Loop: Header=BB4_305 Depth=3
	ds_store_b32 v0, v134
	s_cbranch_execnz .LBB4_1900
.LBB4_377:                              ;   in Loop: Header=BB4_305 Depth=3
	s_or_b32 exec_lo, exec_lo, s40
	;;#ASMSTART
	s_wakeup
	;;#ASMEND
.LBB4_378:                              ;   in Loop: Header=BB4_305 Depth=3
	s_or_b32 exec_lo, exec_lo, s35
.LBB4_379:                              ;   in Loop: Header=BB4_305 Depth=3
	s_and_not1_saveexec_b32 s14, s14
	s_cbranch_execz .LBB4_381
; %bb.380:                              ;   in Loop: Header=BB4_305 Depth=3
	s_waitcnt lgkmcnt(0)
	s_waitcnt_vscnt null, 0x0
	buffer_gl1_inv
	buffer_gl0_inv
	s_barrier
.LBB4_381:                              ;   in Loop: Header=BB4_305 Depth=3
	s_or_b32 exec_lo, exec_lo, s14
.LBB4_382:                              ;   in Loop: Header=BB4_305 Depth=3
	s_delay_alu instid0(SALU_CYCLE_1)
	s_or_b32 exec_lo, exec_lo, s13
	s_cbranch_execnz .LBB4_1522
; %bb.383:                              ;   in Loop: Header=BB4_305 Depth=3
	ds_load_b64 v[13:14], v0
	v_mov_b32_e32 v9, 0
	s_waitcnt lgkmcnt(0)
	v_cmp_eq_u64_e32 vcc_lo, 0, v[13:14]
	s_or_b32 s13, vcc_lo, vcc_lo
	s_delay_alu instid0(SALU_CYCLE_1)
	s_and_b32 vcc_lo, exec_lo, s13
	s_cbranch_vccnz .LBB4_417
; %bb.384:                              ;   in Loop: Header=BB4_305 Depth=3
	s_mov_b32 s13, -1
	s_and_saveexec_b32 s14, s12
	s_cbranch_execz .LBB4_386
; %bb.385:                              ;   in Loop: Header=BB4_305 Depth=3
	ds_load_b32 v2, v0 offset:720
	s_waitcnt lgkmcnt(0)
	v_and_b32_e32 v2, 15, v2
	s_delay_alu instid0(VALU_DEP_1)
	v_cmp_eq_u32_e32 vcc_lo, 0, v2
	s_or_not1_b32 s13, vcc_lo, exec_lo
.LBB4_386:                              ;   in Loop: Header=BB4_305 Depth=3
	s_or_b32 exec_lo, exec_lo, s14
	s_and_saveexec_b32 s14, s6
	s_cbranch_execz .LBB4_388
; %bb.387:                              ;   in Loop: Header=BB4_305 Depth=3
	ds_load_b32 v2, v0 offset:784
	s_waitcnt lgkmcnt(0)
	v_and_b32_e32 v2, 15, v2
	s_delay_alu instid0(VALU_DEP_1) | instskip(SKIP_3) | instid1(SALU_CYCLE_1)
	v_cmp_eq_u32_e32 vcc_lo, 0, v2
	s_and_b32 vcc_lo, s13, vcc_lo
	s_and_not1_b32 s13, s13, exec_lo
	s_and_b32 vcc_lo, vcc_lo, exec_lo
	s_or_b32 s13, s13, vcc_lo
.LBB4_388:                              ;   in Loop: Header=BB4_305 Depth=3
	s_or_b32 exec_lo, exec_lo, s14
	v_cmp_eq_u32_e32 vcc_lo, 0, v12
	s_xor_b32 s13, s13, -1
	v_mov_b32_e32 v12, v99
	v_cndmask_b32_e64 v2, 0, 1, s13
	;;#ASMSTART
	;;#ASMEND
	v_cndmask_b32_e32 v9, 0, v8, vcc_lo
	s_delay_alu instid0(VALU_DEP_2) | instskip(SKIP_2) | instid1(VALU_DEP_3)
	v_cmp_ne_u32_e32 vcc_lo, 0, v2
	v_mov_b32_e32 v2, 0
	s_mov_b32 s13, -1
	v_dual_mov_b32 v21, v0 :: v_dual_mov_b32 v20, v9
	s_cbranch_vccnz .LBB4_404
; %bb.389:                              ;   in Loop: Header=BB4_305 Depth=3
	v_ashrrev_i32_e32 v2, 31, v9
	s_mov_b32 s14, exec_lo
	s_delay_alu instid0(VALU_DEP_1) | instskip(NEXT) | instid1(VALU_DEP_1)
	v_lshrrev_b32_e32 v2, 22, v2
	v_add_nc_u32_e32 v2, v9, v2
	s_delay_alu instid0(VALU_DEP_1) | instskip(NEXT) | instid1(VALU_DEP_1)
	v_ashrrev_i32_e32 v2, 10, v2
	v_sub_nc_u32_e32 v23, v2, v99
	s_delay_alu instid0(VALU_DEP_1)
	v_cmpx_lt_i32_e32 0, v23
	s_cbranch_execz .LBB4_394
; %bb.390:                              ;   in Loop: Header=BB4_305 Depth=3
	s_cbranch_execnz .LBB4_1672
; %bb.391:                              ;   in Loop: Header=BB4_305 Depth=3
	ds_load_b128 v[12:15], v0
	ds_load_b64 v[16:17], v0
	s_mov_b32 s35, 0
	s_waitcnt lgkmcnt(1)
	v_add_co_u32 v12, vcc_lo, v12, v130
	v_add_co_ci_u32_e32 v13, vcc_lo, v13, v131, vcc_lo
	v_add_co_u32 v14, vcc_lo, v14, v130
	v_add_co_ci_u32_e32 v15, vcc_lo, v15, v131, vcc_lo
	s_waitcnt lgkmcnt(0)
	v_add_co_u32 v16, vcc_lo, v16, v130
	v_add_co_ci_u32_e32 v17, vcc_lo, v17, v131, vcc_lo
.LBB4_392:                              ;   Parent Loop BB4_51 Depth=1
                                        ;     Parent Loop BB4_303 Depth=2
                                        ;       Parent Loop BB4_305 Depth=3
                                        ; =>      This Inner Loop Header: Depth=4
	global_load_b128 v[68:71], v[12:13], off slc dlc
	global_load_b128 v[80:83], v[14:15], off slc dlc
	global_load_b128 v[145:148], v[12:13], off offset:512 slc dlc
	global_load_b128 v[160:163], v[14:15], off offset:512 slc dlc
	v_add_co_u32 v12, vcc_lo, v12, v132
	v_sub_nc_u32_e32 v23, v23, v97
	v_add_co_ci_u32_e32 v13, vcc_lo, v13, v133, vcc_lo
	v_add_co_u32 v14, vcc_lo, v14, v132
	v_add_co_ci_u32_e32 v15, vcc_lo, v15, v133, vcc_lo
	s_delay_alu instid0(VALU_DEP_4)
	v_cmp_gt_i32_e32 vcc_lo, 1, v23
	s_or_b32 s35, vcc_lo, s35
	s_waitcnt vmcnt(3)
	v_and_b32_e32 v20, 0xff00ff, v68
	s_waitcnt vmcnt(2)
	v_and_b32_e32 v21, 0xff00ff, v80
	v_and_b32_e32 v22, 0xff00ff00, v68
	;; [unrolled: 1-line block ×15, first 2 shown]
	s_waitcnt vmcnt(1)
	v_and_b32_e32 v164, 0xff00ff, v145
	s_waitcnt vmcnt(0)
	v_and_b32_e32 v165, 0xff00ff, v160
	v_and_b32_e32 v145, 0xff00ff00, v145
	;; [unrolled: 1-line block ×15, first 2 shown]
	v_add_nc_u32_e32 v20, v21, v20
	v_add_nc_u32_e32 v21, v68, v22
	;; [unrolled: 1-line block ×16, first 2 shown]
	v_perm_b32 v68, v21, v20, 0x7020500
	v_perm_b32 v69, v69, v22, 0x7020500
	;; [unrolled: 1-line block ×8, first 2 shown]
	s_clause 0x1
	global_store_b128 v[16:17], v[68:71], off glc slc dlc
	global_store_b128 v[16:17], v[80:83], off offset:512 glc slc dlc
	v_add_co_u32 v16, s13, v16, v132
	s_delay_alu instid0(VALU_DEP_1)
	v_add_co_ci_u32_e64 v17, s13, v17, v133, s13
	s_and_not1_b32 exec_lo, exec_lo, s35
	s_cbranch_execnz .LBB4_392
; %bb.393:                              ;   in Loop: Header=BB4_305 Depth=3
	s_or_b32 exec_lo, exec_lo, s35
.LBB4_394:                              ;   in Loop: Header=BB4_305 Depth=3
	s_delay_alu instid0(SALU_CYCLE_1) | instskip(SKIP_4) | instid1(VALU_DEP_2)
	s_or_b32 exec_lo, exec_lo, s14
	v_lshlrev_b32_e32 v22, 10, v2
	v_mov_b32_e32 v2, 0
	s_mov_b32 s13, 0
	s_mov_b32 s35, exec_lo
                                        ; implicit-def: $vgpr20
                                        ; implicit-def: $vgpr21
                                        ; implicit-def: $vgpr12
	v_cmpx_ne_u32_e64 v9, v22
	s_cbranch_execz .LBB4_403
; %bb.395:                              ;   in Loop: Header=BB4_305 Depth=3
	v_lshlrev_b32_e32 v2, 5, v23
	v_sub_nc_u32_e32 v13, v9, v22
	s_mov_b32 s40, exec_lo
	s_delay_alu instid0(VALU_DEP_2) | instskip(NEXT) | instid1(VALU_DEP_2)
	v_sub_nc_u32_e32 v2, v100, v2
	v_ashrrev_i32_e32 v14, 31, v13
	s_delay_alu instid0(VALU_DEP_2) | instskip(NEXT) | instid1(VALU_DEP_2)
	v_ashrrev_i32_e32 v12, 31, v2
	v_lshrrev_b32_e32 v14, 23, v14
	s_delay_alu instid0(VALU_DEP_2) | instskip(NEXT) | instid1(VALU_DEP_2)
	v_lshrrev_b32_e32 v12, 27, v12
	v_add_nc_u32_e32 v14, v13, v14
	s_delay_alu instid0(VALU_DEP_2) | instskip(NEXT) | instid1(VALU_DEP_2)
	v_add_nc_u32_e32 v12, v2, v12
	v_and_b32_e32 v23, 0xfffffe00, v14
	v_ashrrev_i32_e32 v14, 9, v14
	s_delay_alu instid0(VALU_DEP_3) | instskip(NEXT) | instid1(VALU_DEP_3)
	v_and_b32_e32 v15, 0xffffffe0, v12
	v_sub_nc_u32_e32 v69, v13, v23
	s_delay_alu instid0(VALU_DEP_2) | instskip(SKIP_1) | instid1(VALU_DEP_3)
	v_sub_nc_u32_e32 v68, v2, v15
	v_ashrrev_i32_e32 v15, 5, v12
	v_cmp_lt_i32_e32 vcc_lo, 15, v69
	s_delay_alu instid0(VALU_DEP_3) | instskip(SKIP_1) | instid1(VALU_DEP_2)
	v_lshlrev_b32_e32 v2, 4, v68
	v_add_co_ci_u32_e64 v14, s13, 0, v14, vcc_lo
	v_lshl_add_u32 v12, v15, 9, v2
	s_delay_alu instid0(VALU_DEP_2) | instskip(NEXT) | instid1(VALU_DEP_2)
	v_sub_nc_u32_e32 v70, v14, v15
	v_sub_nc_u32_e32 v2, v13, v12
	s_delay_alu instid0(VALU_DEP_1)
	v_cmpx_lt_i32_e32 15, v2
	s_cbranch_execz .LBB4_400
; %bb.396:                              ;   in Loop: Header=BB4_305 Depth=3
	s_cbranch_execnz .LBB4_1738
; %bb.397:                              ;   in Loop: Header=BB4_305 Depth=3
	ds_load_b128 v[13:16], v0
	ds_load_b64 v[20:21], v0
	v_add_nc_u32_e32 v17, v12, v22
	s_mov_b32 s41, 0
	s_delay_alu instid0(VALU_DEP_1) | instskip(SKIP_2) | instid1(VALU_DEP_1)
	v_ashrrev_i32_e32 v71, 31, v17
	s_waitcnt lgkmcnt(1)
	v_add_co_u32 v12, s13, v13, v17
	v_add_co_ci_u32_e64 v13, s13, v14, v71, s13
	v_add_co_u32 v14, s13, v15, v17
	s_delay_alu instid0(VALU_DEP_1) | instskip(SKIP_2) | instid1(VALU_DEP_1)
	v_add_co_ci_u32_e64 v15, s13, v16, v71, s13
	s_waitcnt lgkmcnt(0)
	v_add_co_u32 v16, s13, v20, v17
	v_add_co_ci_u32_e64 v17, s13, v21, v71, s13
.LBB4_398:                              ;   Parent Loop BB4_51 Depth=1
                                        ;     Parent Loop BB4_303 Depth=2
                                        ;       Parent Loop BB4_305 Depth=3
                                        ; =>      This Inner Loop Header: Depth=4
	global_load_b128 v[80:83], v[12:13], off slc dlc
	global_load_b128 v[145:148], v[14:15], off slc dlc
	v_add_co_u32 v12, s13, v12, v117
	v_sub_nc_u32_e32 v2, v2, v101
	v_add_co_ci_u32_e64 v13, s13, v13, v118, s13
	v_add_co_u32 v14, s13, v14, v117
	s_delay_alu instid0(VALU_DEP_1) | instskip(NEXT) | instid1(VALU_DEP_4)
	v_add_co_ci_u32_e64 v15, s13, v15, v118, s13
	v_cmp_gt_i32_e64 s13, 16, v2
	v_sub_nc_u32_e32 v70, v70, v97
	s_delay_alu instid0(VALU_DEP_2)
	s_or_b32 s41, s13, s41
	s_waitcnt vmcnt(1)
	v_and_b32_e32 v20, 0xff00ff, v80
	s_waitcnt vmcnt(0)
	v_and_b32_e32 v21, 0xff00ff, v145
	v_and_b32_e32 v71, 0xff00ff00, v80
	;; [unrolled: 1-line block ×15, first 2 shown]
	v_add_nc_u32_e32 v20, v21, v20
	v_add_nc_u32_e32 v21, v80, v71
	;; [unrolled: 1-line block ×8, first 2 shown]
	v_perm_b32 v80, v21, v20, 0x7020500
	v_perm_b32 v81, v81, v71, 0x7020500
	;; [unrolled: 1-line block ×3, first 2 shown]
	s_delay_alu instid0(VALU_DEP_4) | instskip(SKIP_2) | instid1(VALU_DEP_1)
	v_perm_b32 v83, v83, v85, 0x7020500
	global_store_b128 v[16:17], v[80:83], off glc slc dlc
	v_add_co_u32 v16, s14, v16, v117
	v_add_co_ci_u32_e64 v17, s14, v17, v118, s14
	s_and_not1_b32 exec_lo, exec_lo, s41
	s_cbranch_execnz .LBB4_398
; %bb.399:                              ;   in Loop: Header=BB4_305 Depth=3
	s_or_b32 exec_lo, exec_lo, s41
.LBB4_400:                              ;   in Loop: Header=BB4_305 Depth=3
	s_delay_alu instid0(SALU_CYCLE_1) | instskip(SKIP_3) | instid1(VALU_DEP_1)
	s_or_b32 exec_lo, exec_lo, s40
	v_dual_mov_b32 v2, 0 :: v_dual_and_b32 v13, 15, v9
	s_mov_b32 s14, 0
	s_mov_b32 s40, exec_lo
                                        ; implicit-def: $vgpr21
                                        ; implicit-def: $vgpr12
	v_cndmask_b32_e32 v20, v69, v13, vcc_lo
	s_delay_alu instid0(VALU_DEP_1)
	v_cmpx_ne_u32_e32 0, v20
; %bb.401:                              ;   in Loop: Header=BB4_305 Depth=3
	v_cmp_lt_i32_e64 s13, 0, v70
	v_sub_nc_u32_e32 v12, v69, v13
	s_mov_b32 s14, exec_lo
	s_delay_alu instid0(VALU_DEP_2) | instskip(NEXT) | instid1(VALU_DEP_1)
	v_cndmask_b32_e64 v2, 0, v97, s13
	v_sub_nc_u32_e32 v2, v2, v70
	s_delay_alu instid0(VALU_DEP_1) | instskip(NEXT) | instid1(VALU_DEP_1)
	v_lshl_add_u32 v21, v2, 5, v68
	v_ashrrev_i32_e32 v2, 31, v21
	s_delay_alu instid0(VALU_DEP_1) | instskip(NEXT) | instid1(VALU_DEP_1)
	v_lshrrev_b32_e32 v2, 27, v2
	v_dual_cndmask_b32 v12, 0, v12 :: v_dual_add_nc_u32 v13, v21, v2
	s_delay_alu instid0(VALU_DEP_1) | instskip(NEXT) | instid1(VALU_DEP_2)
	v_add3_u32 v2, v23, v22, v12
	v_ashrrev_i32_e32 v12, 5, v13
; %bb.402:                              ;   in Loop: Header=BB4_305 Depth=3
	s_or_b32 exec_lo, exec_lo, s40
	s_delay_alu instid0(SALU_CYCLE_1)
	s_and_b32 s13, s14, exec_lo
.LBB4_403:                              ;   in Loop: Header=BB4_305 Depth=3
	s_or_b32 exec_lo, exec_lo, s35
.LBB4_404:                              ;   in Loop: Header=BB4_305 Depth=3
	s_and_saveexec_b32 s14, s13
	s_cbranch_execz .LBB4_416
; %bb.405:                              ;   in Loop: Header=BB4_305 Depth=3
	s_delay_alu instid0(VALU_DEP_1) | instskip(SKIP_1) | instid1(VALU_DEP_1)
	v_ashrrev_i32_e32 v13, 31, v20
	s_mov_b32 s35, exec_lo
	v_lshrrev_b32_e32 v13, 23, v13
	s_delay_alu instid0(VALU_DEP_1) | instskip(NEXT) | instid1(VALU_DEP_1)
	v_add_nc_u32_e32 v13, v20, v13
	v_ashrrev_i32_e32 v23, 9, v13
	s_delay_alu instid0(VALU_DEP_1) | instskip(NEXT) | instid1(VALU_DEP_1)
	v_sub_nc_u32_e32 v22, v23, v12
	v_cmpx_lt_i32_e32 0, v22
	s_cbranch_execz .LBB4_410
; %bb.406:                              ;   in Loop: Header=BB4_305 Depth=3
	s_cbranch_execnz .LBB4_1662
; %bb.407:                              ;   in Loop: Header=BB4_305 Depth=3
	v_ashrrev_i32_e32 v13, 31, v21
	ds_load_b64 v[68:69], v0
	v_lshlrev_b32_e32 v12, 9, v12
	s_mov_b32 s40, 0
	v_lshrrev_b32_e32 v13, 27, v13
	s_delay_alu instid0(VALU_DEP_1) | instskip(NEXT) | instid1(VALU_DEP_1)
	v_add_nc_u32_e32 v13, v21, v13
	v_and_b32_e32 v17, 0xffffffe0, v13
	ds_load_b128 v[13:16], v0
	v_sub_nc_u32_e32 v17, v21, v17
	s_waitcnt lgkmcnt(1)
	v_add_co_u32 v68, vcc_lo, 0x1e0, v68
	v_add_co_ci_u32_e32 v69, vcc_lo, 0, v69, vcc_lo
	s_delay_alu instid0(VALU_DEP_3) | instskip(NEXT) | instid1(VALU_DEP_1)
	v_add3_u32 v17, v2, v17, v12
	v_ashrrev_i32_e32 v70, 31, v17
	s_waitcnt lgkmcnt(0)
	v_add_co_u32 v12, vcc_lo, v13, v17
	s_delay_alu instid0(VALU_DEP_2)
	v_add_co_ci_u32_e32 v13, vcc_lo, v14, v70, vcc_lo
	v_add_co_u32 v14, vcc_lo, v15, v17
	v_add_co_ci_u32_e32 v15, vcc_lo, v16, v70, vcc_lo
	v_add_co_u32 v16, vcc_lo, v68, v17
	v_add_co_ci_u32_e32 v17, vcc_lo, v69, v70, vcc_lo
.LBB4_408:                              ;   Parent Loop BB4_51 Depth=1
                                        ;     Parent Loop BB4_303 Depth=2
                                        ;       Parent Loop BB4_305 Depth=3
                                        ; =>      This Inner Loop Header: Depth=4
	s_clause 0xf
	flat_load_u8 v151, v[12:13] slc dlc
	flat_load_u8 v182, v[12:13] offset:32 slc dlc
	flat_load_u8 v183, v[12:13] offset:64 slc dlc
	;; [unrolled: 1-line block ×15, first 2 shown]
	s_clause 0xf
	flat_load_u8 v61, v[14:15] slc dlc
	flat_load_u8 v62, v[14:15] offset:32 slc dlc
	flat_load_u8 v63, v[14:15] offset:64 slc dlc
	flat_load_u8 v72, v[14:15] offset:96 slc dlc
	flat_load_u8 v73, v[14:15] offset:128 slc dlc
	flat_load_u8 v74, v[14:15] offset:160 slc dlc
	flat_load_u8 v75, v[14:15] offset:192 slc dlc
	flat_load_u8 v76, v[14:15] offset:224 slc dlc
	flat_load_u8 v77, v[14:15] offset:256 slc dlc
	flat_load_u8 v78, v[14:15] offset:288 slc dlc
	flat_load_u8 v79, v[14:15] offset:320 slc dlc
	flat_load_u8 v88, v[14:15] offset:352 slc dlc
	flat_load_u8 v89, v[14:15] offset:384 slc dlc
	flat_load_u8 v90, v[14:15] offset:416 slc dlc
	flat_load_u8 v91, v[14:15] offset:448 slc dlc
	flat_load_u8 v92, v[14:15] offset:480 slc dlc
	v_add_co_u32 v68, vcc_lo, 0xfffffe20, v16
	v_add_co_ci_u32_e32 v69, vcc_lo, -1, v17, vcc_lo
	v_add_co_u32 v70, vcc_lo, 0xfffffe40, v16
	v_add_co_ci_u32_e32 v71, vcc_lo, -1, v17, vcc_lo
	;; [unrolled: 2-line block ×15, first 2 shown]
	v_add_co_u32 v12, vcc_lo, v12, v117
	v_sub_nc_u32_e32 v22, v22, v97
	v_add_co_ci_u32_e32 v13, vcc_lo, v13, v118, vcc_lo
	v_add_co_u32 v14, vcc_lo, v14, v117
	v_add_co_ci_u32_e32 v15, vcc_lo, v15, v118, vcc_lo
	s_delay_alu instid0(VALU_DEP_4)
	v_cmp_gt_i32_e32 vcc_lo, 1, v22
	s_or_b32 s40, vcc_lo, s40
	s_waitcnt vmcnt(15) lgkmcnt(15)
	v_add_nc_u16 v151, v61, v151
	s_waitcnt vmcnt(14) lgkmcnt(14)
	v_add_nc_u16 v182, v62, v182
	s_waitcnt vmcnt(13) lgkmcnt(13)
	v_add_nc_u16 v183, v63, v183
	s_waitcnt vmcnt(12) lgkmcnt(12)
	v_add_nc_u16 v40, v72, v40
	s_waitcnt vmcnt(11) lgkmcnt(11)
	v_add_nc_u16 v41, v73, v41
	s_waitcnt vmcnt(10) lgkmcnt(10)
	v_add_nc_u16 v42, v74, v42
	s_waitcnt vmcnt(9) lgkmcnt(9)
	v_add_nc_u16 v43, v75, v43
	s_waitcnt vmcnt(8) lgkmcnt(8)
	v_add_nc_u16 v44, v76, v44
	s_waitcnt vmcnt(7) lgkmcnt(7)
	v_add_nc_u16 v45, v77, v45
	s_waitcnt vmcnt(6) lgkmcnt(6)
	v_add_nc_u16 v46, v78, v46
	s_waitcnt vmcnt(5) lgkmcnt(5)
	v_add_nc_u16 v47, v79, v47
	s_waitcnt vmcnt(4) lgkmcnt(4)
	v_add_nc_u16 v56, v88, v56
	s_waitcnt vmcnt(3) lgkmcnt(3)
	v_add_nc_u16 v57, v89, v57
	s_waitcnt vmcnt(2) lgkmcnt(2)
	v_add_nc_u16 v58, v90, v58
	s_waitcnt vmcnt(1) lgkmcnt(1)
	v_add_nc_u16 v59, v91, v59
	s_waitcnt vmcnt(0) lgkmcnt(0)
	v_add_nc_u16 v60, v92, v60
	flat_store_b8 v[68:69], v151 glc slc dlc
	flat_store_b8 v[70:71], v182 glc slc dlc
	;; [unrolled: 1-line block ×16, first 2 shown]
	v_add_co_u32 v16, s13, v16, v117
	s_delay_alu instid0(VALU_DEP_1)
	v_add_co_ci_u32_e64 v17, s13, v17, v118, s13
	s_and_not1_b32 exec_lo, exec_lo, s40
	s_cbranch_execnz .LBB4_408
; %bb.409:                              ;   in Loop: Header=BB4_305 Depth=3
	s_or_b32 exec_lo, exec_lo, s40
.LBB4_410:                              ;   in Loop: Header=BB4_305 Depth=3
	s_delay_alu instid0(SALU_CYCLE_1) | instskip(SKIP_2) | instid1(VALU_DEP_1)
	s_or_b32 exec_lo, exec_lo, s35
	v_lshlrev_b32_e32 v12, 9, v23
	s_mov_b32 s35, exec_lo
	v_cmpx_ne_u32_e64 v20, v12
	s_cbranch_execz .LBB4_415
; %bb.411:                              ;   in Loop: Header=BB4_305 Depth=3
	v_ashrrev_i32_e32 v13, 31, v21
	v_lshlrev_b32_e32 v14, 5, v22
	s_delay_alu instid0(VALU_DEP_2) | instskip(NEXT) | instid1(VALU_DEP_1)
	v_lshrrev_b32_e32 v13, 27, v13
	v_add_nc_u32_e32 v13, v21, v13
	s_delay_alu instid0(VALU_DEP_1) | instskip(NEXT) | instid1(VALU_DEP_1)
	v_and_b32_e32 v13, 0xffffffe0, v13
	v_sub_nc_u32_e32 v13, v21, v13
	s_delay_alu instid0(VALU_DEP_1) | instskip(NEXT) | instid1(VALU_DEP_1)
	v_sub_nc_u32_e32 v13, v13, v14
	v_add_nc_u32_e32 v12, v12, v13
	s_delay_alu instid0(VALU_DEP_1) | instskip(NEXT) | instid1(VALU_DEP_1)
	v_sub_nc_u32_e32 v20, v20, v12
	v_cmp_lt_i32_e32 vcc_lo, 0, v20
	s_and_b32 exec_lo, exec_lo, vcc_lo
	s_cbranch_execz .LBB4_415
; %bb.412:                              ;   in Loop: Header=BB4_305 Depth=3
	s_cbranch_execnz .LBB4_1730
; %bb.413:                              ;   in Loop: Header=BB4_305 Depth=3
	ds_load_b128 v[13:16], v0
	ds_load_b64 v[21:22], v0
	v_add_nc_u32_e32 v2, v12, v2
	s_mov_b32 s40, 0
	s_delay_alu instid0(VALU_DEP_1) | instskip(SKIP_2) | instid1(VALU_DEP_2)
	v_ashrrev_i32_e32 v17, 31, v2
	s_waitcnt lgkmcnt(1)
	v_add_co_u32 v12, vcc_lo, v13, v2
	v_add_co_ci_u32_e32 v13, vcc_lo, v14, v17, vcc_lo
	v_add_co_u32 v14, vcc_lo, v15, v2
	v_add_co_ci_u32_e32 v15, vcc_lo, v16, v17, vcc_lo
	s_waitcnt lgkmcnt(0)
	v_add_co_u32 v16, vcc_lo, v21, v2
	v_add_co_ci_u32_e32 v17, vcc_lo, v22, v17, vcc_lo
.LBB4_414:                              ;   Parent Loop BB4_51 Depth=1
                                        ;     Parent Loop BB4_303 Depth=2
                                        ;       Parent Loop BB4_305 Depth=3
                                        ; =>      This Inner Loop Header: Depth=4
	flat_load_u8 v2, v[12:13] slc dlc
	flat_load_u8 v21, v[14:15] slc dlc
	v_add_co_u32 v12, vcc_lo, v12, v128
	v_sub_nc_u32_e32 v20, v20, v98
	v_add_co_ci_u32_e32 v13, vcc_lo, v13, v129, vcc_lo
	v_add_co_u32 v14, vcc_lo, v14, v128
	v_add_co_ci_u32_e32 v15, vcc_lo, v15, v129, vcc_lo
	s_delay_alu instid0(VALU_DEP_4)
	v_cmp_gt_i32_e32 vcc_lo, 1, v20
	s_or_b32 s40, vcc_lo, s40
	s_waitcnt vmcnt(0) lgkmcnt(0)
	v_add_nc_u16 v2, v21, v2
	flat_store_b8 v[16:17], v2 glc slc dlc
	v_add_co_u32 v16, s13, v16, v128
	s_delay_alu instid0(VALU_DEP_1)
	v_add_co_ci_u32_e64 v17, s13, v17, v129, s13
	s_and_not1_b32 exec_lo, exec_lo, s40
	s_cbranch_execnz .LBB4_414
.LBB4_415:                              ;   in Loop: Header=BB4_305 Depth=3
	s_or_b32 exec_lo, exec_lo, s35
.LBB4_416:                              ;   in Loop: Header=BB4_305 Depth=3
	s_delay_alu instid0(SALU_CYCLE_1)
	s_or_b32 exec_lo, exec_lo, s14
.LBB4_417:                              ;   in Loop: Header=BB4_305 Depth=3
	s_and_saveexec_b32 s13, s3
	s_cbranch_execz .LBB4_439
; %bb.418:                              ;   in Loop: Header=BB4_305 Depth=3
	s_and_saveexec_b32 s14, s4
	s_delay_alu instid0(SALU_CYCLE_1)
	s_xor_b32 s14, exec_lo, s14
	s_cbranch_execz .LBB4_436
; %bb.419:                              ;   in Loop: Header=BB4_305 Depth=3
	s_and_saveexec_b32 s35, s1
	s_cbranch_execz .LBB4_435
; %bb.420:                              ;   in Loop: Header=BB4_305 Depth=3
	s_mov_b32 s41, exec_lo
	s_mov_b32 s40, exec_lo
	v_mbcnt_lo_u32_b32 v2, s41, 0
	s_waitcnt lgkmcnt(0)
	s_waitcnt_vscnt null, 0x0
	buffer_gl1_inv
	buffer_gl0_inv
	v_cmpx_eq_u32_e32 0, v2
	s_cbranch_execz .LBB4_422
; %bb.421:                              ;   in Loop: Header=BB4_305 Depth=3
	s_bcnt1_i32_b32 vcc_lo, s41
	s_delay_alu instid0(SALU_CYCLE_1)
	v_mov_b32_e32 v2, vcc_lo
	ds_add_u64 v0, v[2:3]
	s_cbranch_execnz .LBB4_1710
.LBB4_422:                              ;   in Loop: Header=BB4_305 Depth=3
	s_or_b32 exec_lo, exec_lo, s40
	s_cbranch_execnz .LBB4_1686
; %bb.423:                              ;   in Loop: Header=BB4_305 Depth=3
	ds_load_b64 v[12:13], v0
	v_add_co_u32 v48, vcc_lo, v48, v97
	v_add_co_ci_u32_e32 v49, vcc_lo, 0, v49, vcc_lo
	s_mov_b32 s40, exec_lo
	s_waitcnt lgkmcnt(0)
	s_delay_alu instid0(VALU_DEP_1)
	v_cmpx_lt_u64_e64 v[12:13], v[48:49]
	s_cbranch_execz .LBB4_434
; %bb.424:                              ;   in Loop: Header=BB4_305 Depth=3
	s_mov_b32 s41, 0
	s_mov_b32 s44, 0
                                        ; implicit-def: $sgpr42
                                        ; implicit-def: $sgpr43
	s_branch .LBB4_426
.LBB4_425:                              ;   in Loop: Header=BB4_426 Depth=4
	s_or_b32 exec_lo, exec_lo, s46
	s_delay_alu instid0(SALU_CYCLE_1) | instskip(NEXT) | instid1(SALU_CYCLE_1)
	s_and_b32 vcc_lo, exec_lo, vcc_lo
	s_or_b32 s41, vcc_lo, s41
	s_and_not1_b32 vcc_lo, s42, exec_lo
	s_and_b32 s42, s43, exec_lo
	s_delay_alu instid0(SALU_CYCLE_1)
	s_or_b32 s42, vcc_lo, s42
	s_and_not1_b32 exec_lo, exec_lo, s41
	s_cbranch_execz .LBB4_432
.LBB4_426:                              ;   Parent Loop BB4_51 Depth=1
                                        ;     Parent Loop BB4_303 Depth=2
                                        ;       Parent Loop BB4_305 Depth=3
                                        ; =>      This Inner Loop Header: Depth=4
	s_add_i32 s44, s44, 1
                                        ; implicit-def: $sgpr46
	s_delay_alu instid0(SALU_CYCLE_1) | instskip(SKIP_1) | instid1(SALU_CYCLE_1)
	s_cmpk_lg_i32 s44, 0x2710
	s_cselect_b32 s45, -1, 0
	s_and_b32 vcc_lo, exec_lo, s45
	s_cbranch_vccz .LBB4_430
.LBB4_427:                              ;   in Loop: Header=BB4_426 Depth=4
	s_and_not1_b32 s43, s43, exec_lo
	s_and_b32 s46, s46, exec_lo
	s_mov_b32 vcc_lo, -1
	s_or_b32 s43, s43, s46
	s_and_saveexec_b32 s46, s45
	s_cbranch_execz .LBB4_425
; %bb.428:                              ;   in Loop: Header=BB4_426 Depth=4
	s_sleep 1
	s_cbranch_execnz .LBB4_1764
; %bb.429:                              ;   in Loop: Header=BB4_426 Depth=4
	ds_load_b64 v[12:13], v0
	s_and_not1_b32 s43, s43, exec_lo
	s_waitcnt lgkmcnt(0)
	v_cmp_ge_u64_e32 vcc_lo, v[12:13], v[48:49]
	s_or_not1_b32 vcc_lo, vcc_lo, exec_lo
	s_branch .LBB4_425
.LBB4_430:                              ;   in Loop: Header=BB4_426 Depth=4
	s_cbranch_execnz .LBB4_1778
; %bb.431:                              ;   in Loop: Header=BB4_426 Depth=4
	ds_load_b64 v[12:13], v0
	s_and_not1_b32 s45, s45, exec_lo
	s_mov_b32 s44, 0
	s_mov_b32 s46, -1
	s_waitcnt lgkmcnt(0)
	flat_load_b32 v2, v[12:13] glc
	s_waitcnt vmcnt(0) lgkmcnt(0)
	buffer_gl1_inv
	buffer_gl0_inv
	v_cmp_eq_u32_e32 vcc_lo, 0, v2
	s_and_b32 vcc_lo, vcc_lo, exec_lo
	s_delay_alu instid0(SALU_CYCLE_1)
	s_or_b32 s45, s45, vcc_lo
	s_branch .LBB4_427
.LBB4_432:                              ;   in Loop: Header=BB4_305 Depth=3
	s_or_b32 exec_lo, exec_lo, s41
	s_and_saveexec_b32 vcc_lo, s42
	s_delay_alu instid0(SALU_CYCLE_1)
	s_xor_b32 vcc_lo, exec_lo, vcc_lo
	s_cbranch_execz .LBB4_434
; %bb.433:                              ;   in Loop: Header=BB4_305 Depth=3
	ds_store_b32 v0, v134
	s_cbranch_execnz .LBB4_1908
.LBB4_434:                              ;   in Loop: Header=BB4_305 Depth=3
	s_or_b32 exec_lo, exec_lo, s40
	;;#ASMSTART
	s_wakeup
	;;#ASMEND
.LBB4_435:                              ;   in Loop: Header=BB4_305 Depth=3
	s_or_b32 exec_lo, exec_lo, s35
.LBB4_436:                              ;   in Loop: Header=BB4_305 Depth=3
	s_and_not1_saveexec_b32 s14, s14
	s_cbranch_execz .LBB4_438
; %bb.437:                              ;   in Loop: Header=BB4_305 Depth=3
	s_waitcnt lgkmcnt(0)
	s_waitcnt_vscnt null, 0x0
	buffer_gl1_inv
	buffer_gl0_inv
	s_barrier
.LBB4_438:                              ;   in Loop: Header=BB4_305 Depth=3
	s_or_b32 exec_lo, exec_lo, s14
.LBB4_439:                              ;   in Loop: Header=BB4_305 Depth=3
	s_delay_alu instid0(SALU_CYCLE_1) | instskip(SKIP_1) | instid1(SALU_CYCLE_1)
	s_or_b32 exec_lo, exec_lo, s13
                                        ; implicit-def: $vgpr2
	s_and_saveexec_b32 s13, s7
	s_xor_b32 s14, exec_lo, s13
	s_cbranch_execz .LBB4_443
; %bb.440:                              ;   in Loop: Header=BB4_305 Depth=3
	v_and_b32_e32 v2, 16, v30
	v_cmp_lt_i32_e32 vcc_lo, 0, v9
	s_delay_alu instid0(VALU_DEP_2) | instskip(SKIP_1) | instid1(VALU_DEP_2)
	v_cmp_ne_u32_e64 s13, 0, v2
	v_and_b32_e32 v2, 16, v30
	s_and_b32 vcc_lo, s13, vcc_lo
	s_delay_alu instid0(SALU_CYCLE_1)
	s_and_saveexec_b32 s13, vcc_lo
	s_cbranch_execz .LBB4_442
; %bb.441:                              ;   in Loop: Header=BB4_305 Depth=3
	v_mov_b32_e32 v2, 1
	s_waitcnt lgkmcnt(0)
	s_waitcnt_vscnt null, 0x0
	buffer_gl1_inv
	buffer_gl0_inv
.LBB4_442:                              ;   in Loop: Header=BB4_305 Depth=3
	s_or_b32 exec_lo, exec_lo, s13
.LBB4_443:                              ;   in Loop: Header=BB4_305 Depth=3
	s_and_not1_saveexec_b32 s13, s14
	s_cbranch_execz .LBB4_465
; %bb.444:                              ;   in Loop: Header=BB4_305 Depth=3
	s_and_saveexec_b32 s14, s4
	s_delay_alu instid0(SALU_CYCLE_1)
	s_xor_b32 s14, exec_lo, s14
	s_cbranch_execz .LBB4_462
; %bb.445:                              ;   in Loop: Header=BB4_305 Depth=3
	s_and_saveexec_b32 s35, s1
	s_cbranch_execz .LBB4_461
; %bb.446:                              ;   in Loop: Header=BB4_305 Depth=3
	s_mov_b32 s41, exec_lo
	s_mov_b32 s40, exec_lo
	v_mbcnt_lo_u32_b32 v2, s41, 0
	;;#ASMSTART
	s_waitcnt lgkmcnt(0) vmcnt(0)
	;;#ASMEND
	s_delay_alu instid0(VALU_DEP_1)
	v_cmpx_eq_u32_e32 0, v2
	s_cbranch_execz .LBB4_448
; %bb.447:                              ;   in Loop: Header=BB4_305 Depth=3
	s_bcnt1_i32_b32 vcc_lo, s41
	s_delay_alu instid0(SALU_CYCLE_1)
	v_mov_b32_e32 v2, vcc_lo
	ds_add_u64 v0, v[2:3]
	s_cbranch_execnz .LBB4_1712
.LBB4_448:                              ;   in Loop: Header=BB4_305 Depth=3
	s_or_b32 exec_lo, exec_lo, s40
	s_cbranch_execnz .LBB4_1690
; %bb.449:                              ;   in Loop: Header=BB4_305 Depth=3
	ds_load_b64 v[12:13], v0
	v_add_co_u32 v48, vcc_lo, v48, v97
	v_add_co_ci_u32_e32 v49, vcc_lo, 0, v49, vcc_lo
	s_mov_b32 s40, exec_lo
	s_waitcnt lgkmcnt(0)
	s_delay_alu instid0(VALU_DEP_1)
	v_cmpx_lt_u64_e64 v[12:13], v[48:49]
	s_cbranch_execz .LBB4_460
; %bb.450:                              ;   in Loop: Header=BB4_305 Depth=3
	s_mov_b32 s41, 0
	s_mov_b32 s44, 0
                                        ; implicit-def: $sgpr42
                                        ; implicit-def: $sgpr43
	s_branch .LBB4_452
.LBB4_451:                              ;   in Loop: Header=BB4_452 Depth=4
	s_or_b32 exec_lo, exec_lo, s46
	s_delay_alu instid0(SALU_CYCLE_1) | instskip(NEXT) | instid1(SALU_CYCLE_1)
	s_and_b32 vcc_lo, exec_lo, vcc_lo
	s_or_b32 s41, vcc_lo, s41
	s_and_not1_b32 vcc_lo, s42, exec_lo
	s_and_b32 s42, s43, exec_lo
	s_delay_alu instid0(SALU_CYCLE_1)
	s_or_b32 s42, vcc_lo, s42
	s_and_not1_b32 exec_lo, exec_lo, s41
	s_cbranch_execz .LBB4_458
.LBB4_452:                              ;   Parent Loop BB4_51 Depth=1
                                        ;     Parent Loop BB4_303 Depth=2
                                        ;       Parent Loop BB4_305 Depth=3
                                        ; =>      This Inner Loop Header: Depth=4
	s_add_i32 s44, s44, 1
                                        ; implicit-def: $sgpr46
	s_delay_alu instid0(SALU_CYCLE_1) | instskip(SKIP_1) | instid1(SALU_CYCLE_1)
	s_cmpk_lg_i32 s44, 0x2710
	s_cselect_b32 s45, -1, 0
	s_and_b32 vcc_lo, exec_lo, s45
	s_cbranch_vccz .LBB4_456
.LBB4_453:                              ;   in Loop: Header=BB4_452 Depth=4
	s_and_not1_b32 s43, s43, exec_lo
	s_and_b32 s46, s46, exec_lo
	s_mov_b32 vcc_lo, -1
	s_or_b32 s43, s43, s46
	s_and_saveexec_b32 s46, s45
	s_cbranch_execz .LBB4_451
; %bb.454:                              ;   in Loop: Header=BB4_452 Depth=4
	s_sleep 1
	s_cbranch_execnz .LBB4_1766
; %bb.455:                              ;   in Loop: Header=BB4_452 Depth=4
	ds_load_b64 v[12:13], v0
	s_and_not1_b32 s43, s43, exec_lo
	s_waitcnt lgkmcnt(0)
	v_cmp_ge_u64_e32 vcc_lo, v[12:13], v[48:49]
	s_or_not1_b32 vcc_lo, vcc_lo, exec_lo
	s_branch .LBB4_451
.LBB4_456:                              ;   in Loop: Header=BB4_452 Depth=4
	s_cbranch_execnz .LBB4_1786
; %bb.457:                              ;   in Loop: Header=BB4_452 Depth=4
	ds_load_b64 v[12:13], v0
	s_and_not1_b32 s45, s45, exec_lo
	s_mov_b32 s44, 0
	s_mov_b32 s46, -1
	s_waitcnt lgkmcnt(0)
	s_waitcnt_vscnt null, 0x0
	flat_load_b32 v2, v[12:13] glc
	s_waitcnt vmcnt(0) lgkmcnt(0)
	buffer_gl1_inv
	buffer_gl0_inv
	v_cmp_eq_u32_e32 vcc_lo, 0, v2
	s_and_b32 vcc_lo, vcc_lo, exec_lo
	s_delay_alu instid0(SALU_CYCLE_1)
	s_or_b32 s45, s45, vcc_lo
	s_branch .LBB4_453
.LBB4_458:                              ;   in Loop: Header=BB4_305 Depth=3
	s_or_b32 exec_lo, exec_lo, s41
	s_and_saveexec_b32 vcc_lo, s42
	s_delay_alu instid0(SALU_CYCLE_1)
	s_xor_b32 vcc_lo, exec_lo, vcc_lo
	s_cbranch_execz .LBB4_460
; %bb.459:                              ;   in Loop: Header=BB4_305 Depth=3
	ds_store_b32 v0, v134
	s_cbranch_execnz .LBB4_1910
.LBB4_460:                              ;   in Loop: Header=BB4_305 Depth=3
	s_or_b32 exec_lo, exec_lo, s40
	;;#ASMSTART
	s_wakeup
	;;#ASMEND
.LBB4_461:                              ;   in Loop: Header=BB4_305 Depth=3
	s_or_b32 exec_lo, exec_lo, s35
.LBB4_462:                              ;   in Loop: Header=BB4_305 Depth=3
	s_and_not1_saveexec_b32 s14, s14
	s_cbranch_execz .LBB4_464
; %bb.463:                              ;   in Loop: Header=BB4_305 Depth=3
	;;#ASMSTART
	s_waitcnt lgkmcnt(0) vmcnt(0)
	;;#ASMEND
	s_waitcnt lgkmcnt(0)
	s_waitcnt_vscnt null, 0x0
	s_barrier
.LBB4_464:                              ;   in Loop: Header=BB4_305 Depth=3
	s_or_b32 exec_lo, exec_lo, s14
	v_and_b32_e32 v2, 16, v30
.LBB4_465:                              ;   in Loop: Header=BB4_305 Depth=3
	s_or_b32 exec_lo, exec_lo, s13
	s_delay_alu instid0(VALU_DEP_1) | instskip(SKIP_1) | instid1(SALU_CYCLE_1)
	v_cmp_ne_u32_e32 vcc_lo, 0, v2
	s_xor_b32 s13, s10, -1
	s_and_b32 s14, vcc_lo, s13
	s_delay_alu instid0(SALU_CYCLE_1)
	s_and_saveexec_b32 s13, s14
	s_cbranch_execz .LBB4_467
; %bb.466:                              ;   in Loop: Header=BB4_305 Depth=3
	s_waitcnt lgkmcnt(0)
	s_waitcnt_vscnt null, 0x0
	flat_store_b32 v[38:39], v134
.LBB4_467:                              ;   in Loop: Header=BB4_305 Depth=3
	s_or_b32 exec_lo, exec_lo, s13
	v_and_b32_e32 v2, 48, v30
	s_mov_b32 s13, exec_lo
	s_delay_alu instid0(VALU_DEP_1)
	v_cmpx_ne_u32_e32 0, v2
	s_cbranch_execz .LBB4_469
; %bb.468:                              ;   in Loop: Header=BB4_305 Depth=3
	v_add_co_u32 v34, vcc_lo, v34, 2
	v_add_co_ci_u32_e32 v35, vcc_lo, 0, v35, vcc_lo
	s_waitcnt lgkmcnt(0)
	s_waitcnt_vscnt null, 0x0
	flat_store_b64 v[32:33], v[34:35]
.LBB4_469:                              ;   in Loop: Header=BB4_305 Depth=3
	s_or_b32 exec_lo, exec_lo, s13
	v_dual_mov_b32 v2, s19 :: v_dual_add_nc_u32 v19, v8, v19
	s_xor_b32 s13, s18, -1
	s_mov_b32 s18, 0
	s_mov_b32 s19, 2
	s_delay_alu instid0(VALU_DEP_1) | instskip(SKIP_1) | instid1(SALU_CYCLE_1)
	v_cmp_ge_i32_e32 vcc_lo, v19, v18
	s_or_b32 s13, s13, vcc_lo
	s_and_b32 s13, exec_lo, s13
	s_delay_alu instid0(SALU_CYCLE_1) | instskip(NEXT) | instid1(SALU_CYCLE_1)
	s_or_b32 s17, s13, s17
	s_and_not1_b32 exec_lo, exec_lo, s17
	s_cbranch_execnz .LBB4_305
; %bb.470:                              ;   in Loop: Header=BB4_303 Depth=2
	s_or_b32 exec_lo, exec_lo, s17
.LBB4_471:                              ;   in Loop: Header=BB4_303 Depth=2
	s_delay_alu instid0(SALU_CYCLE_1) | instskip(NEXT) | instid1(SALU_CYCLE_1)
	s_or_b32 exec_lo, exec_lo, s16
	s_mov_b32 s14, exec_lo
	v_cmpx_gt_i32_e32 2, v2
	s_cbranch_execz .LBB4_555
; %bb.472:                              ;   in Loop: Header=BB4_303 Depth=2
	v_cmp_eq_u32_e64 s13, 0, v2
	s_mov_b32 s16, 0
.LBB4_473:                              ;   Parent Loop BB4_51 Depth=1
                                        ;     Parent Loop BB4_303 Depth=2
                                        ; =>    This Loop Header: Depth=3
                                        ;         Child Loop BB4_479 Depth 4
                                        ;         Child Loop BB4_509 Depth 4
	;; [unrolled: 1-line block ×3, first 2 shown]
	v_and_b32_e32 v2, 12, v30
	s_mov_b32 s18, -1
	s_mov_b32 s17, exec_lo
	s_delay_alu instid0(VALU_DEP_1)
	v_cmpx_ne_u32_e32 0, v2
	s_cbranch_execz .LBB4_487
; %bb.474:                              ;   in Loop: Header=BB4_473 Depth=3
	v_and_b32_e32 v2, 8, v30
	s_delay_alu instid0(VALU_DEP_1) | instskip(SKIP_3) | instid1(VALU_DEP_1)
	v_add_co_u32 v11, vcc_lo, v50, v2
	v_add_co_ci_u32_e32 v12, vcc_lo, 0, v51, vcc_lo
	v_add_co_u32 v9, vcc_lo, v34, 2
	v_add_co_ci_u32_e32 v10, vcc_lo, 0, v35, vcc_lo
	v_cmp_lt_u64_e32 vcc_lo, v[11:12], v[9:10]
	v_mov_b32_e32 v11, 1
	s_and_saveexec_b32 s18, vcc_lo
	s_cbranch_execz .LBB4_486
; %bb.475:                              ;   in Loop: Header=BB4_473 Depth=3
	v_mov_b32_e32 v11, 0
	s_mov_b32 s19, 0
                                        ; implicit-def: $sgpr35
	s_branch .LBB4_479
.LBB4_476:                              ;   in Loop: Header=BB4_479 Depth=4
	s_or_b32 exec_lo, exec_lo, s43
	v_mov_b32_e32 v12, 0
	s_or_not1_b32 s42, s42, exec_lo
.LBB4_477:                              ;   in Loop: Header=BB4_479 Depth=4
	s_or_b32 exec_lo, exec_lo, s41
	s_delay_alu instid0(VALU_DEP_1) | instskip(SKIP_2) | instid1(SALU_CYCLE_1)
	v_mov_b32_e32 v11, v12
	s_and_not1_b32 vcc_lo, s35, exec_lo
	s_and_b32 s35, s42, exec_lo
	s_or_b32 s35, vcc_lo, s35
.LBB4_478:                              ;   in Loop: Header=BB4_479 Depth=4
	s_or_b32 exec_lo, exec_lo, s40
	s_waitcnt vmcnt(0) lgkmcnt(0)
	v_add_co_u32 v12, vcc_lo, v50, v2
	v_add_co_ci_u32_e32 v13, vcc_lo, 0, v51, vcc_lo
	s_xor_b32 s40, s35, -1
	s_delay_alu instid0(VALU_DEP_1) | instskip(SKIP_1) | instid1(SALU_CYCLE_1)
	v_cmp_ge_u64_e32 vcc_lo, v[12:13], v[9:10]
	s_or_b32 vcc_lo, s40, vcc_lo
	s_and_b32 vcc_lo, exec_lo, vcc_lo
	s_delay_alu instid0(SALU_CYCLE_1) | instskip(NEXT) | instid1(SALU_CYCLE_1)
	s_or_b32 s19, vcc_lo, s19
	s_and_not1_b32 exec_lo, exec_lo, s19
	s_cbranch_execz .LBB4_485
.LBB4_479:                              ;   Parent Loop BB4_51 Depth=1
                                        ;     Parent Loop BB4_303 Depth=2
                                        ;       Parent Loop BB4_473 Depth=3
                                        ; =>      This Inner Loop Header: Depth=4
	s_sleep 1
	flat_load_b64 v[50:51], v[32:33] glc
	v_and_b32_e32 v12, 64, v30
	s_and_not1_b32 s35, s35, exec_lo
	s_mov_b32 s40, exec_lo
	s_delay_alu instid0(VALU_DEP_1)
	v_cmpx_eq_u32_e32 0, v12
	s_cbranch_execz .LBB4_478
; %bb.480:                              ;   in Loop: Header=BB4_479 Depth=4
	v_add_nc_u32_e32 v12, 1, v11
	s_mov_b32 s42, -1
	s_mov_b32 s41, exec_lo
	v_cmpx_lt_i32_e32 0x270e, v11
	s_cbranch_execz .LBB4_477
; %bb.481:                              ;   in Loop: Header=BB4_479 Depth=4
	s_cbranch_execnz .LBB4_1510
; %bb.482:                              ;   in Loop: Header=BB4_479 Depth=4
	ds_load_b64 v[11:12], v0
	s_mov_b32 s43, exec_lo
	s_waitcnt vmcnt(0) lgkmcnt(0)
	s_waitcnt_vscnt null, 0x0
	flat_load_b32 v11, v[11:12] glc
	s_waitcnt vmcnt(0) lgkmcnt(0)
	buffer_gl1_inv
	buffer_gl0_inv
	v_cmpx_ne_u32_e32 0, v11
	s_cbranch_execz .LBB4_476
; %bb.483:                              ;   in Loop: Header=BB4_479 Depth=4
	ds_store_b32 v0, v11
	s_cbranch_execnz .LBB4_1558
; %bb.484:                              ;   in Loop: Header=BB4_479 Depth=4
	v_or_b32_e32 v30, 64, v30
	s_xor_b32 s42, exec_lo, -1
	s_branch .LBB4_476
.LBB4_485:                              ;   in Loop: Header=BB4_473 Depth=3
	s_or_b32 exec_lo, exec_lo, s19
	v_and_b32_e32 v11, 12, v30
.LBB4_486:                              ;   in Loop: Header=BB4_473 Depth=3
	s_or_b32 exec_lo, exec_lo, s18
	s_delay_alu instid0(VALU_DEP_1)
	v_cmp_eq_u32_e32 vcc_lo, 0, v11
	;;#ASMSTART
	s_wakeup
	;;#ASMEND
	s_or_not1_b32 s18, vcc_lo, exec_lo
.LBB4_487:                              ;   in Loop: Header=BB4_473 Depth=3
	s_or_b32 exec_lo, exec_lo, s17
	v_sub_nc_u32_e32 v2, v18, v19
	s_xor_b32 s13, s13, -1
	s_delay_alu instid0(SALU_CYCLE_1) | instskip(NEXT) | instid1(SALU_CYCLE_1)
	s_and_b32 s13, exec_lo, s13
	s_or_b32 s16, s13, s16
	s_delay_alu instid0(VALU_DEP_1) | instskip(SKIP_1) | instid1(SALU_CYCLE_1)
	v_min_i32_e32 v8, v8, v2
	s_xor_b32 s13, s18, -1
	s_and_saveexec_b32 s17, s13
	s_cbranch_execz .LBB4_500
; %bb.488:                              ;   in Loop: Header=BB4_473 Depth=3
	v_and_b32_e32 v2, 0x108, v30
	s_delay_alu instid0(VALU_DEP_1) | instskip(SKIP_2) | instid1(SALU_CYCLE_1)
	v_cmp_ne_u32_e32 vcc_lo, 0x108, v2
	v_and_b32_e32 v2, 7, v34
	s_and_saveexec_b32 s13, vcc_lo
	s_xor_b32 s13, exec_lo, s13
	s_delay_alu instid0(SALU_CYCLE_1)
	s_and_not1_saveexec_b32 s13, s13
	s_cbranch_execz .LBB4_490
; %bb.489:                              ;   in Loop: Header=BB4_473 Depth=3
	v_mad_u64_u32 v[10:11], null, v2, 24, v[6:7]
	v_ashrrev_i32_e32 v9, 31, v8
	flat_store_b64 v[10:11], v[8:9] offset:8
.LBB4_490:                              ;   in Loop: Header=BB4_473 Depth=3
	s_or_b32 exec_lo, exec_lo, s13
	v_and_b32_e32 v9, 0x100, v30
	s_mov_b32 s13, -1
	s_delay_alu instid0(VALU_DEP_1)
	v_cmp_ne_u32_e32 vcc_lo, 0, v9
                                        ; implicit-def: $vgpr9_vgpr10
	s_and_saveexec_b32 s18, vcc_lo
	s_cbranch_execnz .LBB4_493
; %bb.491:                              ;   in Loop: Header=BB4_473 Depth=3
	s_or_b32 exec_lo, exec_lo, s18
	s_and_saveexec_b32 s18, s13
	s_cbranch_execnz .LBB4_496
.LBB4_492:                              ;   in Loop: Header=BB4_473 Depth=3
	s_or_b32 exec_lo, exec_lo, s18
	s_cbranch_execnz .LBB4_1502
	s_branch .LBB4_497
.LBB4_493:                              ;   in Loop: Header=BB4_473 Depth=3
	v_mad_u64_u32 v[11:12], null, v2, 24, v[6:7]
	s_delay_alu instid0(VALU_DEP_1) | instskip(NEXT) | instid1(VALU_DEP_1)
	v_mov_b32_e32 v9, v12
	v_mad_u64_u32 v[12:13], null, v3, 24, v[9:10]
	flat_load_b32 v9, v[11:12]
	s_waitcnt vmcnt(0) lgkmcnt(0)
	v_cmp_ne_u32_e32 vcc_lo, 1, v9
	v_cmp_eq_u32_e64 s13, 1, v9
                                        ; implicit-def: $vgpr9_vgpr10
	s_delay_alu instid0(VALU_DEP_1)
	s_and_saveexec_b32 s19, s13
	s_cbranch_execz .LBB4_495
; %bb.494:                              ;   in Loop: Header=BB4_473 Depth=3
	flat_load_b32 v9, v[11:12] offset:4 glc
	s_waitcnt vmcnt(0) lgkmcnt(0)
	v_ashrrev_i32_e32 v10, 31, v9
.LBB4_495:                              ;   in Loop: Header=BB4_473 Depth=3
	s_or_b32 exec_lo, exec_lo, s19
	s_delay_alu instid0(SALU_CYCLE_1)
	s_or_not1_b32 s13, vcc_lo, exec_lo
	s_or_b32 exec_lo, exec_lo, s18
	s_and_saveexec_b32 s18, s13
	s_cbranch_execz .LBB4_492
.LBB4_496:                              ;   in Loop: Header=BB4_473 Depth=3
	v_mul_lo_u32 v11, v3, v86
	v_mul_lo_u32 v12, v2, v96
	v_mad_u64_u32 v[9:10], null, v2, v86, 0
	s_delay_alu instid0(VALU_DEP_1)
	v_add3_u32 v10, v10, v12, v11
	s_or_b32 exec_lo, exec_lo, s18
	s_cbranch_execnz .LBB4_1502
.LBB4_497:                              ;   in Loop: Header=BB4_473 Depth=3
	s_delay_alu instid0(VALU_DEP_2)
	v_add_co_u32 v9, vcc_lo, v36, v9
	v_and_b32_e32 v2, 0x2000, v30
	v_add_co_ci_u32_e32 v10, vcc_lo, v37, v10, vcc_lo
	s_mov_b32 s13, exec_lo
	ds_store_b64 v0, v[9:10]
	v_cmpx_ne_u32_e32 0, v2
	s_cbranch_execz .LBB4_499
; %bb.498:                              ;   in Loop: Header=BB4_473 Depth=3
	ds_load_b64 v[9:10], v0 offset:584
	s_waitcnt lgkmcnt(0)
	v_add_co_u32 v9, vcc_lo, v9, 1
	v_add_co_ci_u32_e32 v10, vcc_lo, 0, v10, vcc_lo
	ds_store_b64 v0, v[9:10] offset:584
.LBB4_499:                              ;   in Loop: Header=BB4_473 Depth=3
	s_or_b32 exec_lo, exec_lo, s13
	v_add_co_u32 v34, vcc_lo, v34, 2
	v_add_co_ci_u32_e32 v35, vcc_lo, 0, v35, vcc_lo
.LBB4_500:                              ;   in Loop: Header=BB4_473 Depth=3
	s_or_b32 exec_lo, exec_lo, s17
	s_and_saveexec_b32 s13, s3
	s_cbranch_execz .LBB4_522
; %bb.501:                              ;   in Loop: Header=BB4_473 Depth=3
	s_and_saveexec_b32 s17, s4
	s_delay_alu instid0(SALU_CYCLE_1)
	s_xor_b32 s17, exec_lo, s17
	s_cbranch_execz .LBB4_519
; %bb.502:                              ;   in Loop: Header=BB4_473 Depth=3
	s_and_saveexec_b32 s18, s1
	s_cbranch_execz .LBB4_518
; %bb.503:                              ;   in Loop: Header=BB4_473 Depth=3
	s_mov_b32 s35, exec_lo
	s_mov_b32 s19, exec_lo
	v_mbcnt_lo_u32_b32 v2, s35, 0
	s_waitcnt lgkmcnt(0)
	s_waitcnt_vscnt null, 0x0
	buffer_gl1_inv
	buffer_gl0_inv
	v_cmpx_eq_u32_e32 0, v2
	s_cbranch_execz .LBB4_505
; %bb.504:                              ;   in Loop: Header=BB4_473 Depth=3
	s_bcnt1_i32_b32 vcc_lo, s35
	s_delay_alu instid0(SALU_CYCLE_1)
	v_mov_b32_e32 v2, vcc_lo
	ds_add_u64 v0, v[2:3]
	s_cbranch_execnz .LBB4_1612
.LBB4_505:                              ;   in Loop: Header=BB4_473 Depth=3
	s_or_b32 exec_lo, exec_lo, s19
	s_cbranch_execnz .LBB4_1578
; %bb.506:                              ;   in Loop: Header=BB4_473 Depth=3
	ds_load_b64 v[9:10], v0
	v_add_co_u32 v48, vcc_lo, v48, v97
	v_add_co_ci_u32_e32 v49, vcc_lo, 0, v49, vcc_lo
	s_mov_b32 s19, exec_lo
	s_waitcnt lgkmcnt(0)
	s_delay_alu instid0(VALU_DEP_1)
	v_cmpx_lt_u64_e64 v[9:10], v[48:49]
	s_cbranch_execz .LBB4_517
; %bb.507:                              ;   in Loop: Header=BB4_473 Depth=3
	s_mov_b32 s35, 0
	s_mov_b32 s42, 0
                                        ; implicit-def: $sgpr40
                                        ; implicit-def: $sgpr41
	s_branch .LBB4_509
.LBB4_508:                              ;   in Loop: Header=BB4_509 Depth=4
	s_or_b32 exec_lo, exec_lo, s44
	s_delay_alu instid0(SALU_CYCLE_1) | instskip(NEXT) | instid1(SALU_CYCLE_1)
	s_and_b32 vcc_lo, exec_lo, vcc_lo
	s_or_b32 s35, vcc_lo, s35
	s_and_not1_b32 vcc_lo, s40, exec_lo
	s_and_b32 s40, s41, exec_lo
	s_delay_alu instid0(SALU_CYCLE_1)
	s_or_b32 s40, vcc_lo, s40
	s_and_not1_b32 exec_lo, exec_lo, s35
	s_cbranch_execz .LBB4_515
.LBB4_509:                              ;   Parent Loop BB4_51 Depth=1
                                        ;     Parent Loop BB4_303 Depth=2
                                        ;       Parent Loop BB4_473 Depth=3
                                        ; =>      This Inner Loop Header: Depth=4
	s_add_i32 s42, s42, 1
                                        ; implicit-def: $sgpr44
	s_delay_alu instid0(SALU_CYCLE_1) | instskip(SKIP_1) | instid1(SALU_CYCLE_1)
	s_cmpk_lg_i32 s42, 0x2710
	s_cselect_b32 s43, -1, 0
	s_and_b32 vcc_lo, exec_lo, s43
	s_cbranch_vccz .LBB4_513
.LBB4_510:                              ;   in Loop: Header=BB4_509 Depth=4
	s_and_not1_b32 s41, s41, exec_lo
	s_and_b32 s44, s44, exec_lo
	s_mov_b32 vcc_lo, -1
	s_or_b32 s41, s41, s44
	s_and_saveexec_b32 s44, s43
	s_cbranch_execz .LBB4_508
; %bb.511:                              ;   in Loop: Header=BB4_509 Depth=4
	s_sleep 1
	s_cbranch_execnz .LBB4_1660
; %bb.512:                              ;   in Loop: Header=BB4_509 Depth=4
	ds_load_b64 v[9:10], v0
	s_and_not1_b32 s41, s41, exec_lo
	s_waitcnt lgkmcnt(0)
	v_cmp_ge_u64_e32 vcc_lo, v[9:10], v[48:49]
	s_or_not1_b32 vcc_lo, vcc_lo, exec_lo
	s_branch .LBB4_508
.LBB4_513:                              ;   in Loop: Header=BB4_509 Depth=4
	s_cbranch_execnz .LBB4_1670
; %bb.514:                              ;   in Loop: Header=BB4_509 Depth=4
	ds_load_b64 v[9:10], v0
	s_and_not1_b32 s43, s43, exec_lo
	s_mov_b32 s42, 0
	s_mov_b32 s44, -1
	s_waitcnt lgkmcnt(0)
	flat_load_b32 v2, v[9:10] glc
	s_waitcnt vmcnt(0) lgkmcnt(0)
	buffer_gl1_inv
	buffer_gl0_inv
	v_cmp_eq_u32_e32 vcc_lo, 0, v2
	s_and_b32 vcc_lo, vcc_lo, exec_lo
	s_delay_alu instid0(SALU_CYCLE_1)
	s_or_b32 s43, s43, vcc_lo
	s_branch .LBB4_510
.LBB4_515:                              ;   in Loop: Header=BB4_473 Depth=3
	s_or_b32 exec_lo, exec_lo, s35
	s_and_saveexec_b32 vcc_lo, s40
	s_delay_alu instid0(SALU_CYCLE_1)
	s_xor_b32 vcc_lo, exec_lo, vcc_lo
	s_cbranch_execz .LBB4_517
; %bb.516:                              ;   in Loop: Header=BB4_473 Depth=3
	ds_store_b32 v0, v134
	s_cbranch_execnz .LBB4_1870
.LBB4_517:                              ;   in Loop: Header=BB4_473 Depth=3
	s_or_b32 exec_lo, exec_lo, s19
	;;#ASMSTART
	s_wakeup
	;;#ASMEND
.LBB4_518:                              ;   in Loop: Header=BB4_473 Depth=3
	s_or_b32 exec_lo, exec_lo, s18
.LBB4_519:                              ;   in Loop: Header=BB4_473 Depth=3
	s_and_not1_saveexec_b32 s17, s17
	s_cbranch_execz .LBB4_521
; %bb.520:                              ;   in Loop: Header=BB4_473 Depth=3
	s_waitcnt lgkmcnt(0)
	s_waitcnt_vscnt null, 0x0
	buffer_gl1_inv
	buffer_gl0_inv
	s_barrier
.LBB4_521:                              ;   in Loop: Header=BB4_473 Depth=3
	s_or_b32 exec_lo, exec_lo, s17
.LBB4_522:                              ;   in Loop: Header=BB4_473 Depth=3
	s_delay_alu instid0(SALU_CYCLE_1) | instskip(SKIP_2) | instid1(SALU_CYCLE_1)
	s_or_b32 exec_lo, exec_lo, s13
	s_mov_b32 s17, s34
                                        ; implicit-def: $vgpr2
	s_and_saveexec_b32 s13, s34
	s_xor_b32 s13, exec_lo, s13
	s_cbranch_execz .LBB4_544
; %bb.523:                              ;   in Loop: Header=BB4_473 Depth=3
	s_and_saveexec_b32 s18, s4
	s_delay_alu instid0(SALU_CYCLE_1)
	s_xor_b32 s18, exec_lo, s18
	s_cbranch_execz .LBB4_541
; %bb.524:                              ;   in Loop: Header=BB4_473 Depth=3
	s_and_saveexec_b32 s19, s1
	s_cbranch_execz .LBB4_540
; %bb.525:                              ;   in Loop: Header=BB4_473 Depth=3
	s_mov_b32 s35, exec_lo
	s_mov_b32 s34, exec_lo
	v_mbcnt_lo_u32_b32 v2, s35, 0
	;;#ASMSTART
	s_waitcnt lgkmcnt(0) vmcnt(0)
	;;#ASMEND
	s_delay_alu instid0(VALU_DEP_1)
	v_cmpx_eq_u32_e32 0, v2
	s_cbranch_execz .LBB4_527
; %bb.526:                              ;   in Loop: Header=BB4_473 Depth=3
	s_bcnt1_i32_b32 vcc_lo, s35
	s_delay_alu instid0(SALU_CYCLE_1)
	v_mov_b32_e32 v2, vcc_lo
	ds_add_u64 v0, v[2:3]
	s_cbranch_execnz .LBB4_1620
.LBB4_527:                              ;   in Loop: Header=BB4_473 Depth=3
	s_or_b32 exec_lo, exec_lo, s34
	s_cbranch_execnz .LBB4_1588
; %bb.528:                              ;   in Loop: Header=BB4_473 Depth=3
	ds_load_b64 v[9:10], v0
	v_add_co_u32 v48, vcc_lo, v48, v97
	v_add_co_ci_u32_e32 v49, vcc_lo, 0, v49, vcc_lo
	s_mov_b32 s34, exec_lo
	s_waitcnt lgkmcnt(0)
	s_delay_alu instid0(VALU_DEP_1)
	v_cmpx_lt_u64_e64 v[9:10], v[48:49]
	s_cbranch_execz .LBB4_539
; %bb.529:                              ;   in Loop: Header=BB4_473 Depth=3
	s_mov_b32 s35, 0
	s_mov_b32 s42, 0
                                        ; implicit-def: $sgpr40
                                        ; implicit-def: $sgpr41
	s_branch .LBB4_531
.LBB4_530:                              ;   in Loop: Header=BB4_531 Depth=4
	s_or_b32 exec_lo, exec_lo, s44
	s_delay_alu instid0(SALU_CYCLE_1) | instskip(NEXT) | instid1(SALU_CYCLE_1)
	s_and_b32 vcc_lo, exec_lo, vcc_lo
	s_or_b32 s35, vcc_lo, s35
	s_and_not1_b32 vcc_lo, s40, exec_lo
	s_and_b32 s40, s41, exec_lo
	s_delay_alu instid0(SALU_CYCLE_1)
	s_or_b32 s40, vcc_lo, s40
	s_and_not1_b32 exec_lo, exec_lo, s35
	s_cbranch_execz .LBB4_537
.LBB4_531:                              ;   Parent Loop BB4_51 Depth=1
                                        ;     Parent Loop BB4_303 Depth=2
                                        ;       Parent Loop BB4_473 Depth=3
                                        ; =>      This Inner Loop Header: Depth=4
	s_add_i32 s42, s42, 1
                                        ; implicit-def: $sgpr44
	s_delay_alu instid0(SALU_CYCLE_1) | instskip(SKIP_1) | instid1(SALU_CYCLE_1)
	s_cmpk_lg_i32 s42, 0x2710
	s_cselect_b32 s43, -1, 0
	s_and_b32 vcc_lo, exec_lo, s43
	s_cbranch_vccz .LBB4_535
.LBB4_532:                              ;   in Loop: Header=BB4_531 Depth=4
	s_and_not1_b32 s41, s41, exec_lo
	s_and_b32 s44, s44, exec_lo
	s_mov_b32 vcc_lo, -1
	s_or_b32 s41, s41, s44
	s_and_saveexec_b32 s44, s43
	s_cbranch_execz .LBB4_530
; %bb.533:                              ;   in Loop: Header=BB4_531 Depth=4
	s_sleep 1
	s_cbranch_execnz .LBB4_1664
; %bb.534:                              ;   in Loop: Header=BB4_531 Depth=4
	ds_load_b64 v[9:10], v0
	s_and_not1_b32 s41, s41, exec_lo
	s_waitcnt lgkmcnt(0)
	v_cmp_ge_u64_e32 vcc_lo, v[9:10], v[48:49]
	s_or_not1_b32 vcc_lo, vcc_lo, exec_lo
	s_branch .LBB4_530
.LBB4_535:                              ;   in Loop: Header=BB4_531 Depth=4
	s_cbranch_execnz .LBB4_1682
; %bb.536:                              ;   in Loop: Header=BB4_531 Depth=4
	ds_load_b64 v[9:10], v0
	s_and_not1_b32 s43, s43, exec_lo
	s_mov_b32 s42, 0
	s_mov_b32 s44, -1
	s_waitcnt lgkmcnt(0)
	s_waitcnt_vscnt null, 0x0
	flat_load_b32 v2, v[9:10] glc
	s_waitcnt vmcnt(0) lgkmcnt(0)
	buffer_gl1_inv
	buffer_gl0_inv
	v_cmp_eq_u32_e32 vcc_lo, 0, v2
	s_and_b32 vcc_lo, vcc_lo, exec_lo
	s_delay_alu instid0(SALU_CYCLE_1)
	s_or_b32 s43, s43, vcc_lo
	s_branch .LBB4_532
.LBB4_537:                              ;   in Loop: Header=BB4_473 Depth=3
	s_or_b32 exec_lo, exec_lo, s35
	s_and_saveexec_b32 vcc_lo, s40
	s_delay_alu instid0(SALU_CYCLE_1)
	s_xor_b32 vcc_lo, exec_lo, vcc_lo
	s_cbranch_execz .LBB4_539
; %bb.538:                              ;   in Loop: Header=BB4_473 Depth=3
	ds_store_b32 v0, v134
	s_cbranch_execnz .LBB4_1874
.LBB4_539:                              ;   in Loop: Header=BB4_473 Depth=3
	s_or_b32 exec_lo, exec_lo, s34
	;;#ASMSTART
	s_wakeup
	;;#ASMEND
.LBB4_540:                              ;   in Loop: Header=BB4_473 Depth=3
	s_or_b32 exec_lo, exec_lo, s19
.LBB4_541:                              ;   in Loop: Header=BB4_473 Depth=3
	s_and_not1_saveexec_b32 s18, s18
	s_cbranch_execz .LBB4_543
; %bb.542:                              ;   in Loop: Header=BB4_473 Depth=3
	;;#ASMSTART
	s_waitcnt lgkmcnt(0) vmcnt(0)
	;;#ASMEND
	s_waitcnt lgkmcnt(0)
	s_waitcnt_vscnt null, 0x0
	s_barrier
.LBB4_543:                              ;   in Loop: Header=BB4_473 Depth=3
	s_or_b32 exec_lo, exec_lo, s18
	v_and_b32_e32 v2, 16, v30
.LBB4_544:                              ;   in Loop: Header=BB4_473 Depth=3
	s_and_not1_saveexec_b32 s18, s13
	s_cbranch_execz .LBB4_549
; %bb.545:                              ;   in Loop: Header=BB4_473 Depth=3
	s_cbranch_execnz .LBB4_1524
; %bb.546:                              ;   in Loop: Header=BB4_473 Depth=3
	ds_load_b32 v2, v0
	v_cmp_lt_i32_e32 vcc_lo, 0, v8
	s_waitcnt lgkmcnt(0)
	v_readfirstlane_b32 s13, v2
	v_and_b32_e32 v2, 16, v30
	s_delay_alu instid0(VALU_DEP_2) | instskip(NEXT) | instid1(VALU_DEP_1)
	s_cmp_eq_u32 s13, 0
	v_cmp_ne_u32_e64 s13, 0, v2
	s_cselect_b32 s19, -1, 0
	v_and_b32_e32 v2, 16, v30
	s_and_b32 s19, vcc_lo, s19
	s_delay_alu instid0(VALU_DEP_2) | instid1(SALU_CYCLE_1)
	s_and_b32 s19, s13, s19
	s_delay_alu instid0(SALU_CYCLE_1)
	s_and_saveexec_b32 s13, s19
	s_cbranch_execz .LBB4_548
; %bb.547:                              ;   in Loop: Header=BB4_473 Depth=3
	v_mov_b32_e32 v2, 1
	s_waitcnt_vscnt null, 0x0
	buffer_gl1_inv
	buffer_gl0_inv
.LBB4_548:                              ;   in Loop: Header=BB4_473 Depth=3
	s_or_b32 exec_lo, exec_lo, s13
.LBB4_549:                              ;   in Loop: Header=BB4_473 Depth=3
	s_delay_alu instid0(SALU_CYCLE_1) | instskip(NEXT) | instid1(VALU_DEP_1)
	s_or_b32 exec_lo, exec_lo, s18
	v_cmp_ne_u32_e32 vcc_lo, 0, v2
	s_xor_b32 s13, s10, -1
	s_delay_alu instid0(SALU_CYCLE_1) | instskip(NEXT) | instid1(SALU_CYCLE_1)
	s_and_b32 s18, vcc_lo, s13
	s_and_saveexec_b32 s13, s18
	s_cbranch_execz .LBB4_551
; %bb.550:                              ;   in Loop: Header=BB4_473 Depth=3
	s_waitcnt lgkmcnt(0)
	s_waitcnt_vscnt null, 0x0
	flat_store_b32 v[38:39], v134
.LBB4_551:                              ;   in Loop: Header=BB4_473 Depth=3
	s_or_b32 exec_lo, exec_lo, s13
	v_and_b32_e32 v2, 48, v30
	s_mov_b32 s13, exec_lo
	s_delay_alu instid0(VALU_DEP_1)
	v_cmpx_ne_u32_e32 0, v2
	s_cbranch_execz .LBB4_553
; %bb.552:                              ;   in Loop: Header=BB4_473 Depth=3
	v_add_co_u32 v34, vcc_lo, v34, 2
	v_add_co_ci_u32_e32 v35, vcc_lo, 0, v35, vcc_lo
	s_waitcnt lgkmcnt(0)
	s_waitcnt_vscnt null, 0x0
	flat_store_b64 v[32:33], v[34:35]
.LBB4_553:                              ;   in Loop: Header=BB4_473 Depth=3
	s_or_b32 exec_lo, exec_lo, s13
	v_add_nc_u32_e32 v19, v8, v19
	s_mov_b32 s13, 0
	s_mov_b32 s34, s17
	s_and_not1_b32 exec_lo, exec_lo, s16
	s_cbranch_execnz .LBB4_473
; %bb.554:                              ;   in Loop: Header=BB4_303 Depth=2
	s_or_b32 exec_lo, exec_lo, s16
.LBB4_555:                              ;   in Loop: Header=BB4_303 Depth=2
	s_delay_alu instid0(SALU_CYCLE_1) | instskip(SKIP_1) | instid1(SALU_CYCLE_1)
	s_or_b32 exec_lo, exec_lo, s14
	s_add_i32 s15, s15, 1
	s_cmp_eq_u32 s15, s23
	s_cbranch_scc0 .LBB4_303
.LBB4_556:                              ;   in Loop: Header=BB4_51 Depth=1
	v_mul_lo_u32 v2, v65, s23
	v_mul_lo_u32 v10, v64, s37
	v_mad_u64_u32 v[8:9], null, v64, s23, 0
	v_mov_b32_e32 v146, 0
	s_mov_b32 s16, 0
	s_delay_alu instid0(VALU_DEP_2) | instskip(NEXT) | instid1(VALU_DEP_3)
	v_add3_u32 v9, v9, v10, v2
	v_sub_co_u32 v10, vcc_lo, v66, v8
	s_delay_alu instid0(VALU_DEP_2) | instskip(NEXT) | instid1(VALU_DEP_1)
	v_sub_co_ci_u32_e32 v11, vcc_lo, v67, v9, vcc_lo
	v_cmp_lt_i64_e32 vcc_lo, v[64:65], v[10:11]
	v_cndmask_b32_e32 v10, v10, v64, vcc_lo
	s_delay_alu instid0(VALU_DEP_1) | instskip(NEXT) | instid1(VALU_DEP_1)
	v_max_i32_e32 v145, 0, v10
	v_add_nc_u32_e32 v2, 31, v145
	s_delay_alu instid0(VALU_DEP_1) | instskip(NEXT) | instid1(VALU_DEP_1)
	v_lshrrev_b32_e32 v2, 1, v2
	v_and_b32_e32 v11, 0x3ffffff0, v2
	v_cmp_lt_i32_e32 vcc_lo, 0, v10
	v_mov_b32_e32 v2, 0
	s_delay_alu instid0(VALU_DEP_3) | instskip(SKIP_1) | instid1(SALU_CYCLE_1)
	v_max_i32_e32 v68, s25, v11
	s_and_b32 s14, s27, vcc_lo
	s_and_saveexec_b32 s13, s14
	s_cbranch_execz .LBB4_773
; %bb.557:                              ;   in Loop: Header=BB4_51 Depth=1
	v_add_co_u32 v147, vcc_lo, v8, v135
	v_add_co_ci_u32_e32 v148, vcc_lo, v9, v144, vcc_lo
	v_mov_b32_e32 v146, 0
	s_mov_b32 s17, 1
	s_mov_b32 s15, -1
                                        ; implicit-def: $vgpr168 : SGPR spill to VGPR lane
	v_writelane_b32 v168, s13, 0
.LBB4_558:                              ;   Parent Loop BB4_51 Depth=1
                                        ; =>  This Loop Header: Depth=2
                                        ;       Child Loop BB4_567 Depth 3
                                        ;       Child Loop BB4_599 Depth 3
	;; [unrolled: 1-line block ×5, first 2 shown]
                                        ;         Child Loop BB4_658 Depth 4
                                        ;       Child Loop BB4_670 Depth 3
                                        ;       Child Loop BB4_676 Depth 3
                                        ;         Child Loop BB4_677 Depth 4
                                        ;       Child Loop BB4_693 Depth 3
                                        ;       Child Loop BB4_699 Depth 3
	;; [unrolled: 1-line block ×6, first 2 shown]
	s_and_saveexec_b32 s14, s0
	s_cbranch_execz .LBB4_561
; %bb.559:                              ;   in Loop: Header=BB4_558 Depth=2
	s_cbranch_execnz .LBB4_1492
; %bb.560:                              ;   in Loop: Header=BB4_558 Depth=2
	ds_load_2addr_b64 v[8:11], v0 offset1:1
	ds_load_b64 v[12:13], v0
	v_ashrrev_i32_e32 v2, 31, v146
	s_waitcnt lgkmcnt(1)
	v_add_co_u32 v8, vcc_lo, v8, v147
	v_add_co_ci_u32_e32 v9, vcc_lo, v9, v148, vcc_lo
	v_add_co_u32 v10, vcc_lo, v10, v147
	v_add_co_ci_u32_e32 v11, vcc_lo, v11, v148, vcc_lo
	s_waitcnt lgkmcnt(0)
	v_add_co_u32 v14, vcc_lo, v12, v147
	v_add_co_ci_u32_e32 v15, vcc_lo, v13, v148, vcc_lo
	v_add_co_u32 v8, vcc_lo, v8, v146
	v_add_co_ci_u32_e32 v9, vcc_lo, v9, v2, vcc_lo
	s_delay_alu instid0(VALU_DEP_4) | instskip(NEXT) | instid1(VALU_DEP_4)
	v_add_co_u32 v14, vcc_lo, v14, v146
	v_add_co_ci_u32_e32 v15, vcc_lo, v15, v2, vcc_lo
	v_cmp_ne_u64_e32 vcc_lo, 0, v[12:13]
	v_add_co_u32 v10, s13, v10, v146
	s_delay_alu instid0(VALU_DEP_1) | instskip(NEXT) | instid1(VALU_DEP_4)
	v_add_co_ci_u32_e64 v11, s13, v11, v2, s13
	v_dual_cndmask_b32 v13, 0, v15 :: v_dual_cndmask_b32 v12, 0, v14
	ds_store_b64 v0, v[8:9]
	ds_store_b64 v0, v[10:11]
	ds_store_b64 v0, v[12:13]
.LBB4_561:                              ;   in Loop: Header=BB4_558 Depth=2
	s_or_b32 exec_lo, exec_lo, s14
	v_and_b32_e32 v2, 12, v30
	s_mov_b32 s18, -1
	s_mov_b32 s13, exec_lo
	s_delay_alu instid0(VALU_DEP_1)
	v_cmpx_ne_u32_e32 0, v2
	s_cbranch_execz .LBB4_575
; %bb.562:                              ;   in Loop: Header=BB4_558 Depth=2
	v_and_b32_e32 v2, 8, v30
	s_mov_b32 s14, s17
	s_delay_alu instid0(VALU_DEP_1) | instskip(SKIP_3) | instid1(VALU_DEP_1)
	v_add_co_u32 v10, vcc_lo, v50, v2
	v_add_co_ci_u32_e32 v11, vcc_lo, 0, v51, vcc_lo
	v_add_co_u32 v8, vcc_lo, v34, 2
	v_add_co_ci_u32_e32 v9, vcc_lo, 0, v35, vcc_lo
	v_cmp_lt_u64_e32 vcc_lo, v[10:11], v[8:9]
	v_mov_b32_e32 v10, 1
	s_and_saveexec_b32 s17, vcc_lo
	s_cbranch_execz .LBB4_574
; %bb.563:                              ;   in Loop: Header=BB4_558 Depth=2
	v_mov_b32_e32 v10, 0
	s_mov_b32 s18, 0
                                        ; implicit-def: $sgpr19
	s_branch .LBB4_567
.LBB4_564:                              ;   in Loop: Header=BB4_567 Depth=3
	s_or_b32 exec_lo, exec_lo, s42
	v_mov_b32_e32 v11, 0
	s_or_not1_b32 s41, s41, exec_lo
.LBB4_565:                              ;   in Loop: Header=BB4_567 Depth=3
	s_or_b32 exec_lo, exec_lo, s40
	s_delay_alu instid0(VALU_DEP_1) | instskip(SKIP_2) | instid1(SALU_CYCLE_1)
	v_mov_b32_e32 v10, v11
	s_and_not1_b32 s19, s19, exec_lo
	s_and_b32 vcc_lo, s41, exec_lo
	s_or_b32 s19, s19, vcc_lo
.LBB4_566:                              ;   in Loop: Header=BB4_567 Depth=3
	s_or_b32 exec_lo, exec_lo, s35
	s_waitcnt vmcnt(0) lgkmcnt(0)
	v_add_co_u32 v11, vcc_lo, v50, v2
	v_add_co_ci_u32_e32 v12, vcc_lo, 0, v51, vcc_lo
	s_xor_b32 s35, s19, -1
	s_delay_alu instid0(VALU_DEP_1) | instskip(SKIP_1) | instid1(SALU_CYCLE_1)
	v_cmp_ge_u64_e32 vcc_lo, v[11:12], v[8:9]
	s_or_b32 vcc_lo, s35, vcc_lo
	s_and_b32 vcc_lo, exec_lo, vcc_lo
	s_delay_alu instid0(SALU_CYCLE_1) | instskip(NEXT) | instid1(SALU_CYCLE_1)
	s_or_b32 s18, vcc_lo, s18
	s_and_not1_b32 exec_lo, exec_lo, s18
	s_cbranch_execz .LBB4_573
.LBB4_567:                              ;   Parent Loop BB4_51 Depth=1
                                        ;     Parent Loop BB4_558 Depth=2
                                        ; =>    This Inner Loop Header: Depth=3
	s_sleep 1
	flat_load_b64 v[50:51], v[32:33] glc
	v_and_b32_e32 v11, 64, v30
	s_and_not1_b32 s19, s19, exec_lo
	s_mov_b32 s35, exec_lo
	s_delay_alu instid0(VALU_DEP_1)
	v_cmpx_eq_u32_e32 0, v11
	s_cbranch_execz .LBB4_566
; %bb.568:                              ;   in Loop: Header=BB4_567 Depth=3
	v_add_nc_u32_e32 v11, 1, v10
	s_mov_b32 s41, -1
	s_mov_b32 s40, exec_lo
	v_cmpx_lt_i32_e32 0x270e, v10
	s_cbranch_execz .LBB4_565
; %bb.569:                              ;   in Loop: Header=BB4_567 Depth=3
	s_cbranch_execnz .LBB4_1518
; %bb.570:                              ;   in Loop: Header=BB4_567 Depth=3
	ds_load_b64 v[10:11], v0
	s_mov_b32 s42, exec_lo
	s_waitcnt vmcnt(0) lgkmcnt(0)
	s_waitcnt_vscnt null, 0x0
	flat_load_b32 v10, v[10:11] glc
	s_waitcnt vmcnt(0) lgkmcnt(0)
	buffer_gl1_inv
	buffer_gl0_inv
	v_cmpx_ne_u32_e32 0, v10
	s_cbranch_execz .LBB4_564
; %bb.571:                              ;   in Loop: Header=BB4_567 Depth=3
	ds_store_b32 v0, v10
	s_cbranch_execnz .LBB4_1572
; %bb.572:                              ;   in Loop: Header=BB4_567 Depth=3
	v_or_b32_e32 v30, 64, v30
	s_xor_b32 s41, exec_lo, -1
	s_branch .LBB4_564
.LBB4_573:                              ;   in Loop: Header=BB4_558 Depth=2
	s_or_b32 exec_lo, exec_lo, s18
	v_and_b32_e32 v10, 12, v30
.LBB4_574:                              ;   in Loop: Header=BB4_558 Depth=2
	s_or_b32 exec_lo, exec_lo, s17
	s_delay_alu instid0(VALU_DEP_1)
	v_cmp_eq_u32_e32 vcc_lo, 0, v10
	s_mov_b32 s17, s14
	;;#ASMSTART
	s_wakeup
	;;#ASMEND
	s_or_not1_b32 s18, vcc_lo, exec_lo
.LBB4_575:                              ;   in Loop: Header=BB4_558 Depth=2
	s_or_b32 exec_lo, exec_lo, s13
	v_sub_nc_u32_e32 v2, v145, v146
	s_xor_b32 s13, s18, -1
	s_delay_alu instid0(VALU_DEP_1)
	v_min_i32_e32 v68, v68, v2
	s_and_saveexec_b32 s14, s13
	s_cbranch_execz .LBB4_590
; %bb.576:                              ;   in Loop: Header=BB4_558 Depth=2
	v_and_b32_e32 v2, 0x108, v30
	s_mov_b32 s13, exec_lo
	s_delay_alu instid0(VALU_DEP_1)
	v_cmpx_ne_u32_e32 0x108, v2
	s_xor_b32 s13, exec_lo, s13
                                        ; implicit-def: $vgpr8_vgpr9
; %bb.577:                              ;   in Loop: Header=BB4_558 Depth=2
	v_and_b32_e32 v8, 7, v34
; %bb.578:                              ;   in Loop: Header=BB4_558 Depth=2
	s_and_not1_saveexec_b32 s13, s13
	s_cbranch_execz .LBB4_580
; %bb.579:                              ;   in Loop: Header=BB4_558 Depth=2
	v_and_b32_e32 v8, 7, v34
	v_ashrrev_i32_e32 v69, 31, v68
	s_delay_alu instid0(VALU_DEP_2)
	v_mad_u64_u32 v[9:10], null, v8, 24, v[6:7]
	flat_store_b64 v[9:10], v[68:69] offset:8
.LBB4_580:                              ;   in Loop: Header=BB4_558 Depth=2
	s_or_b32 exec_lo, exec_lo, s13
	v_and_b32_e32 v2, 0x100, v30
	s_mov_b32 s13, -1
	s_mov_b32 s18, exec_lo
                                        ; implicit-def: $vgpr9_vgpr10
	s_delay_alu instid0(VALU_DEP_1)
	v_cmpx_ne_u32_e32 0, v2
	s_cbranch_execnz .LBB4_583
; %bb.581:                              ;   in Loop: Header=BB4_558 Depth=2
	s_or_b32 exec_lo, exec_lo, s18
	s_and_saveexec_b32 s18, s13
	s_cbranch_execnz .LBB4_586
.LBB4_582:                              ;   in Loop: Header=BB4_558 Depth=2
	s_or_b32 exec_lo, exec_lo, s18
	s_cbranch_execnz .LBB4_1512
	s_branch .LBB4_587
.LBB4_583:                              ;   in Loop: Header=BB4_558 Depth=2
	v_mad_u64_u32 v[11:12], null, v8, 24, v[6:7]
	s_mov_b32 s19, exec_lo
	s_delay_alu instid0(VALU_DEP_1) | instskip(NEXT) | instid1(VALU_DEP_1)
	v_mov_b32_e32 v2, v12
	v_mad_u64_u32 v[9:10], null, v3, 24, v[2:3]
	s_delay_alu instid0(VALU_DEP_1)
	v_mov_b32_e32 v12, v9
                                        ; implicit-def: $vgpr9_vgpr10
	flat_load_b32 v2, v[11:12]
	s_waitcnt vmcnt(0) lgkmcnt(0)
	v_cmp_ne_u32_e32 vcc_lo, 1, v2
	v_cmpx_eq_u32_e32 1, v2
	s_cbranch_execz .LBB4_585
; %bb.584:                              ;   in Loop: Header=BB4_558 Depth=2
	flat_load_b32 v9, v[11:12] offset:4 glc
	s_waitcnt vmcnt(0) lgkmcnt(0)
	v_ashrrev_i32_e32 v10, 31, v9
.LBB4_585:                              ;   in Loop: Header=BB4_558 Depth=2
	s_or_b32 exec_lo, exec_lo, s19
	s_delay_alu instid0(SALU_CYCLE_1)
	s_or_not1_b32 s13, vcc_lo, exec_lo
	s_or_b32 exec_lo, exec_lo, s18
	s_and_saveexec_b32 s18, s13
	s_cbranch_execz .LBB4_582
.LBB4_586:                              ;   in Loop: Header=BB4_558 Depth=2
	v_mul_lo_u32 v2, v3, v86
	v_mul_lo_u32 v11, v8, v96
	v_mad_u64_u32 v[9:10], null, v8, v86, 0
	s_delay_alu instid0(VALU_DEP_1)
	v_add3_u32 v10, v10, v11, v2
	s_or_b32 exec_lo, exec_lo, s18
	s_cbranch_execnz .LBB4_1512
.LBB4_587:                              ;   in Loop: Header=BB4_558 Depth=2
	s_delay_alu instid0(VALU_DEP_2)
	v_add_co_u32 v8, vcc_lo, v36, v9
	v_and_b32_e32 v2, 0x2000, v30
	v_add_co_ci_u32_e32 v9, vcc_lo, v37, v10, vcc_lo
	s_mov_b32 s13, exec_lo
	ds_store_b64 v0, v[8:9]
	v_cmpx_ne_u32_e32 0, v2
	s_cbranch_execz .LBB4_589
; %bb.588:                              ;   in Loop: Header=BB4_558 Depth=2
	ds_load_b64 v[8:9], v0 offset:584
	s_waitcnt lgkmcnt(0)
	v_add_co_u32 v8, vcc_lo, v8, 1
	v_add_co_ci_u32_e32 v9, vcc_lo, 0, v9, vcc_lo
	ds_store_b64 v0, v[8:9] offset:584
.LBB4_589:                              ;   in Loop: Header=BB4_558 Depth=2
	s_or_b32 exec_lo, exec_lo, s13
	v_add_co_u32 v34, vcc_lo, v34, 2
	v_add_co_ci_u32_e32 v35, vcc_lo, 0, v35, vcc_lo
.LBB4_590:                              ;   in Loop: Header=BB4_558 Depth=2
	v_writelane_b32 v168, s15, 1
	v_writelane_b32 v168, s17, 2
	;; [unrolled: 1-line block ×17, first 2 shown]
	v_writelane_b32 v168, vcc_hi, 18
	v_writelane_b32 v168, s22, 19
	v_writelane_b32 v168, s27, 20
	;; [unrolled: 1-line block ×3, first 2 shown]
	s_or_b32 exec_lo, exec_lo, s14
	s_and_saveexec_b32 s13, s3
	s_cbranch_execz .LBB4_612
; %bb.591:                              ;   in Loop: Header=BB4_558 Depth=2
	s_and_saveexec_b32 s14, s4
	s_delay_alu instid0(SALU_CYCLE_1)
	s_xor_b32 s14, exec_lo, s14
	s_cbranch_execz .LBB4_609
; %bb.592:                              ;   in Loop: Header=BB4_558 Depth=2
	s_and_saveexec_b32 s15, s1
	s_cbranch_execz .LBB4_608
; %bb.593:                              ;   in Loop: Header=BB4_558 Depth=2
	s_mov_b32 s17, exec_lo
	s_mov_b32 s16, exec_lo
	v_mbcnt_lo_u32_b32 v2, s17, 0
	s_waitcnt lgkmcnt(0)
	s_waitcnt_vscnt null, 0x0
	buffer_gl1_inv
	buffer_gl0_inv
	v_cmpx_eq_u32_e32 0, v2
	s_cbranch_execz .LBB4_595
; %bb.594:                              ;   in Loop: Header=BB4_558 Depth=2
	s_bcnt1_i32_b32 s17, s17
	s_delay_alu instid0(SALU_CYCLE_1)
	v_mov_b32_e32 v2, s17
	ds_add_u64 v0, v[2:3]
	s_cbranch_execnz .LBB4_1626
.LBB4_595:                              ;   in Loop: Header=BB4_558 Depth=2
	s_or_b32 exec_lo, exec_lo, s16
	s_cbranch_execnz .LBB4_1600
; %bb.596:                              ;   in Loop: Header=BB4_558 Depth=2
	ds_load_b64 v[8:9], v0
	v_add_co_u32 v48, vcc_lo, v48, v97
	v_add_co_ci_u32_e32 v49, vcc_lo, 0, v49, vcc_lo
	s_mov_b32 s16, exec_lo
	s_waitcnt lgkmcnt(0)
	s_delay_alu instid0(VALU_DEP_1)
	v_cmpx_lt_u64_e64 v[8:9], v[48:49]
	s_cbranch_execz .LBB4_607
; %bb.597:                              ;   in Loop: Header=BB4_558 Depth=2
	s_mov_b32 s17, 0
	s_mov_b32 s20, 0
                                        ; implicit-def: $sgpr18
                                        ; implicit-def: $sgpr19
	s_branch .LBB4_599
.LBB4_598:                              ;   in Loop: Header=BB4_599 Depth=3
	s_or_b32 exec_lo, exec_lo, s23
	s_delay_alu instid0(SALU_CYCLE_1) | instskip(NEXT) | instid1(SALU_CYCLE_1)
	s_and_b32 s21, exec_lo, s22
	s_or_b32 s17, s21, s17
	s_and_not1_b32 s18, s18, exec_lo
	s_and_b32 s21, s19, exec_lo
	s_delay_alu instid0(SALU_CYCLE_1)
	s_or_b32 s18, s18, s21
	s_and_not1_b32 exec_lo, exec_lo, s17
	s_cbranch_execz .LBB4_605
.LBB4_599:                              ;   Parent Loop BB4_51 Depth=1
                                        ;     Parent Loop BB4_558 Depth=2
                                        ; =>    This Inner Loop Header: Depth=3
	s_add_i32 s20, s20, 1
                                        ; implicit-def: $sgpr22
	s_delay_alu instid0(SALU_CYCLE_1) | instskip(SKIP_1) | instid1(SALU_CYCLE_1)
	s_cmpk_lg_i32 s20, 0x2710
	s_cselect_b32 s21, -1, 0
	s_and_b32 vcc_lo, exec_lo, s21
	s_cbranch_vccz .LBB4_603
.LBB4_600:                              ;   in Loop: Header=BB4_599 Depth=3
	s_and_not1_b32 s19, s19, exec_lo
	s_and_b32 s23, s22, exec_lo
	s_mov_b32 s22, -1
	s_or_b32 s19, s19, s23
	s_and_saveexec_b32 s23, s21
	s_cbranch_execz .LBB4_598
; %bb.601:                              ;   in Loop: Header=BB4_599 Depth=3
	s_sleep 1
	s_cbranch_execnz .LBB4_1674
; %bb.602:                              ;   in Loop: Header=BB4_599 Depth=3
	ds_load_b64 v[8:9], v0
	s_and_not1_b32 s19, s19, exec_lo
	s_waitcnt lgkmcnt(0)
	v_cmp_ge_u64_e32 vcc_lo, v[8:9], v[48:49]
	s_or_not1_b32 s22, vcc_lo, exec_lo
	s_branch .LBB4_598
.LBB4_603:                              ;   in Loop: Header=BB4_599 Depth=3
	s_cbranch_execnz .LBB4_1688
; %bb.604:                              ;   in Loop: Header=BB4_599 Depth=3
	ds_load_b64 v[8:9], v0
	s_and_not1_b32 s21, s21, exec_lo
	s_mov_b32 s20, 0
	s_mov_b32 s22, -1
	s_waitcnt lgkmcnt(0)
	flat_load_b32 v2, v[8:9] glc
	s_waitcnt vmcnt(0) lgkmcnt(0)
	buffer_gl1_inv
	buffer_gl0_inv
	v_cmp_eq_u32_e32 vcc_lo, 0, v2
	s_and_b32 s23, vcc_lo, exec_lo
	s_delay_alu instid0(SALU_CYCLE_1)
	s_or_b32 s21, s21, s23
	s_branch .LBB4_600
.LBB4_605:                              ;   in Loop: Header=BB4_558 Depth=2
	s_or_b32 exec_lo, exec_lo, s17
	s_and_saveexec_b32 s17, s18
	s_delay_alu instid0(SALU_CYCLE_1)
	s_xor_b32 s17, exec_lo, s17
	s_cbranch_execz .LBB4_607
; %bb.606:                              ;   in Loop: Header=BB4_558 Depth=2
	ds_store_b32 v0, v134
	s_cbranch_execnz .LBB4_1880
.LBB4_607:                              ;   in Loop: Header=BB4_558 Depth=2
	s_or_b32 exec_lo, exec_lo, s16
	;;#ASMSTART
	s_wakeup
	;;#ASMEND
.LBB4_608:                              ;   in Loop: Header=BB4_558 Depth=2
	s_or_b32 exec_lo, exec_lo, s15
.LBB4_609:                              ;   in Loop: Header=BB4_558 Depth=2
	s_and_not1_saveexec_b32 s14, s14
	s_cbranch_execz .LBB4_611
; %bb.610:                              ;   in Loop: Header=BB4_558 Depth=2
	s_waitcnt lgkmcnt(0)
	s_waitcnt_vscnt null, 0x0
	buffer_gl1_inv
	buffer_gl0_inv
	s_barrier
.LBB4_611:                              ;   in Loop: Header=BB4_558 Depth=2
	s_or_b32 exec_lo, exec_lo, s14
.LBB4_612:                              ;   in Loop: Header=BB4_558 Depth=2
	s_delay_alu instid0(SALU_CYCLE_1)
	s_or_b32 exec_lo, exec_lo, s13
	s_cbranch_execnz .LBB4_1498
; %bb.613:                              ;   in Loop: Header=BB4_558 Depth=2
	ds_load_b32 v8, v0
	v_and_b32_e32 v2, 0x4000, v30
	s_xor_b32 s13, s2, -1
	s_delay_alu instid0(VALU_DEP_1) | instskip(SKIP_1) | instid1(SALU_CYCLE_1)
	v_cmp_ne_u32_e32 vcc_lo, 0, v2
	s_and_b32 s14, s13, vcc_lo
	s_and_saveexec_b32 s13, s14
	s_cbranch_execz .LBB4_635
; %bb.614:                              ;   in Loop: Header=BB4_558 Depth=2
	s_and_saveexec_b32 s14, s4
	s_delay_alu instid0(SALU_CYCLE_1)
	s_xor_b32 s14, exec_lo, s14
	s_cbranch_execz .LBB4_632
; %bb.615:                              ;   in Loop: Header=BB4_558 Depth=2
	s_and_saveexec_b32 s15, s1
	s_cbranch_execz .LBB4_631
; %bb.616:                              ;   in Loop: Header=BB4_558 Depth=2
	s_mov_b32 s17, exec_lo
	s_mov_b32 s16, exec_lo
	v_mbcnt_lo_u32_b32 v2, s17, 0
	s_waitcnt lgkmcnt(0)
	s_waitcnt_vscnt null, 0x0
	buffer_gl1_inv
	buffer_gl0_inv
	v_cmpx_eq_u32_e32 0, v2
	s_cbranch_execz .LBB4_618
; %bb.617:                              ;   in Loop: Header=BB4_558 Depth=2
	s_bcnt1_i32_b32 s17, s17
	s_delay_alu instid0(SALU_CYCLE_1)
	v_mov_b32_e32 v2, s17
	ds_add_u64 v0, v[2:3]
	s_cbranch_execnz .LBB4_1666
.LBB4_618:                              ;   in Loop: Header=BB4_558 Depth=2
	s_or_b32 exec_lo, exec_lo, s16
	s_cbranch_execnz .LBB4_1636
; %bb.619:                              ;   in Loop: Header=BB4_558 Depth=2
	ds_load_b64 v[9:10], v0
	v_add_co_u32 v48, vcc_lo, v48, v97
	v_add_co_ci_u32_e32 v49, vcc_lo, 0, v49, vcc_lo
	s_mov_b32 s16, exec_lo
	s_waitcnt lgkmcnt(0)
	s_delay_alu instid0(VALU_DEP_1)
	v_cmpx_lt_u64_e64 v[9:10], v[48:49]
	s_cbranch_execz .LBB4_630
; %bb.620:                              ;   in Loop: Header=BB4_558 Depth=2
	s_mov_b32 s17, 0
	s_mov_b32 s20, 0
                                        ; implicit-def: $sgpr18
                                        ; implicit-def: $sgpr19
	s_branch .LBB4_622
.LBB4_621:                              ;   in Loop: Header=BB4_622 Depth=3
	s_or_b32 exec_lo, exec_lo, s23
	s_delay_alu instid0(SALU_CYCLE_1) | instskip(NEXT) | instid1(SALU_CYCLE_1)
	s_and_b32 s21, exec_lo, s22
	s_or_b32 s17, s21, s17
	s_and_not1_b32 s18, s18, exec_lo
	s_and_b32 s21, s19, exec_lo
	s_delay_alu instid0(SALU_CYCLE_1)
	s_or_b32 s18, s18, s21
	s_and_not1_b32 exec_lo, exec_lo, s17
	s_cbranch_execz .LBB4_628
.LBB4_622:                              ;   Parent Loop BB4_51 Depth=1
                                        ;     Parent Loop BB4_558 Depth=2
                                        ; =>    This Inner Loop Header: Depth=3
	s_add_i32 s20, s20, 1
                                        ; implicit-def: $sgpr22
	s_delay_alu instid0(SALU_CYCLE_1) | instskip(SKIP_1) | instid1(SALU_CYCLE_1)
	s_cmpk_lg_i32 s20, 0x2710
	s_cselect_b32 s21, -1, 0
	s_and_b32 vcc_lo, exec_lo, s21
	s_cbranch_vccz .LBB4_626
.LBB4_623:                              ;   in Loop: Header=BB4_622 Depth=3
	s_and_not1_b32 s19, s19, exec_lo
	s_and_b32 s23, s22, exec_lo
	s_mov_b32 s22, -1
	s_or_b32 s19, s19, s23
	s_and_saveexec_b32 s23, s21
	s_cbranch_execz .LBB4_621
; %bb.624:                              ;   in Loop: Header=BB4_622 Depth=3
	s_sleep 1
	s_cbranch_execnz .LBB4_1726
; %bb.625:                              ;   in Loop: Header=BB4_622 Depth=3
	ds_load_b64 v[9:10], v0
	s_and_not1_b32 s19, s19, exec_lo
	s_waitcnt lgkmcnt(0)
	v_cmp_ge_u64_e32 vcc_lo, v[9:10], v[48:49]
	s_or_not1_b32 s22, vcc_lo, exec_lo
	s_branch .LBB4_621
.LBB4_626:                              ;   in Loop: Header=BB4_622 Depth=3
	s_cbranch_execnz .LBB4_1742
; %bb.627:                              ;   in Loop: Header=BB4_622 Depth=3
	ds_load_b64 v[9:10], v0
	s_and_not1_b32 s21, s21, exec_lo
	s_mov_b32 s20, 0
	s_mov_b32 s22, -1
	s_waitcnt lgkmcnt(0)
	flat_load_b32 v2, v[9:10] glc
	s_waitcnt vmcnt(0) lgkmcnt(0)
	buffer_gl1_inv
	buffer_gl0_inv
	v_cmp_eq_u32_e32 vcc_lo, 0, v2
	s_and_b32 s23, vcc_lo, exec_lo
	s_delay_alu instid0(SALU_CYCLE_1)
	s_or_b32 s21, s21, s23
	s_branch .LBB4_623
.LBB4_628:                              ;   in Loop: Header=BB4_558 Depth=2
	s_or_b32 exec_lo, exec_lo, s17
	s_and_saveexec_b32 s17, s18
	s_delay_alu instid0(SALU_CYCLE_1)
	s_xor_b32 s17, exec_lo, s17
	s_cbranch_execz .LBB4_630
; %bb.629:                              ;   in Loop: Header=BB4_558 Depth=2
	ds_store_b32 v0, v134
	s_cbranch_execnz .LBB4_1904
.LBB4_630:                              ;   in Loop: Header=BB4_558 Depth=2
	s_or_b32 exec_lo, exec_lo, s16
	;;#ASMSTART
	s_wakeup
	;;#ASMEND
.LBB4_631:                              ;   in Loop: Header=BB4_558 Depth=2
	s_or_b32 exec_lo, exec_lo, s15
.LBB4_632:                              ;   in Loop: Header=BB4_558 Depth=2
	s_and_not1_saveexec_b32 s14, s14
	s_cbranch_execz .LBB4_634
; %bb.633:                              ;   in Loop: Header=BB4_558 Depth=2
	s_waitcnt lgkmcnt(0)
	s_waitcnt_vscnt null, 0x0
	buffer_gl1_inv
	buffer_gl0_inv
	s_barrier
.LBB4_634:                              ;   in Loop: Header=BB4_558 Depth=2
	s_or_b32 exec_lo, exec_lo, s14
.LBB4_635:                              ;   in Loop: Header=BB4_558 Depth=2
	s_delay_alu instid0(SALU_CYCLE_1)
	s_or_b32 exec_lo, exec_lo, s13
	s_cbranch_execnz .LBB4_1532
; %bb.636:                              ;   in Loop: Header=BB4_558 Depth=2
	ds_load_b64 v[9:10], v0
	v_mov_b32_e32 v149, 0
	s_waitcnt lgkmcnt(0)
	v_cmp_eq_u64_e32 vcc_lo, 0, v[9:10]
	s_or_b32 s13, vcc_lo, vcc_lo
	s_delay_alu instid0(SALU_CYCLE_1)
	s_and_b32 vcc_lo, exec_lo, s13
	s_cbranch_vccnz .LBB4_719
; %bb.637:                              ;   in Loop: Header=BB4_558 Depth=2
	v_cmp_eq_u32_e32 vcc_lo, 0, v8
	s_cbranch_execnz .LBB4_1592
; %bb.638:                              ;   in Loop: Header=BB4_558 Depth=2
	ds_load_b64 v[69:70], v0
	v_cndmask_b32_e32 v149, 0, v68, vcc_lo
	s_waitcnt lgkmcnt(0)
	v_cmp_ne_u64_e64 s13, 0, v[69:70]
	s_delay_alu instid0(VALU_DEP_1)
	s_and_b32 vcc_lo, exec_lo, s13
	s_cbranch_vccz .LBB4_645
; %bb.639:                              ;   in Loop: Header=BB4_558 Depth=2
	s_mov_b32 s13, -1
	s_and_saveexec_b32 s14, s12
	s_cbranch_execz .LBB4_641
; %bb.640:                              ;   in Loop: Header=BB4_558 Depth=2
	ds_load_b32 v2, v0 offset:720
	s_waitcnt lgkmcnt(0)
	v_and_b32_e32 v2, 15, v2
	s_delay_alu instid0(VALU_DEP_1)
	v_cmp_eq_u32_e32 vcc_lo, 0, v2
	s_or_not1_b32 s13, vcc_lo, exec_lo
.LBB4_641:                              ;   in Loop: Header=BB4_558 Depth=2
	s_or_b32 exec_lo, exec_lo, s14
	s_and_saveexec_b32 s14, s12
	s_cbranch_execz .LBB4_643
; %bb.642:                              ;   in Loop: Header=BB4_558 Depth=2
	ds_load_b32 v2, v0 offset:784
	s_waitcnt lgkmcnt(0)
	v_and_b32_e32 v2, 15, v2
	s_delay_alu instid0(VALU_DEP_1) | instskip(SKIP_3) | instid1(SALU_CYCLE_1)
	v_cmp_eq_u32_e32 vcc_lo, 0, v2
	s_and_b32 s15, s13, vcc_lo
	s_and_not1_b32 s13, s13, exec_lo
	s_and_b32 s15, s15, exec_lo
	s_or_b32 s13, s13, s15
.LBB4_643:                              ;   in Loop: Header=BB4_558 Depth=2
	s_or_b32 exec_lo, exec_lo, s14
	s_xor_b32 s13, s13, -1
	s_delay_alu instid0(SALU_CYCLE_1) | instskip(SKIP_1) | instid1(VALU_DEP_1)
	v_cndmask_b32_e64 v2, 0, 1, s13
	;;#ASMSTART
	;;#ASMEND
	v_cmp_ne_u32_e32 vcc_lo, 0, v2
	s_mov_b32 s13, -1
	s_cbranch_vccz .LBB4_646
; %bb.644:                              ;   in Loop: Header=BB4_558 Depth=2
	v_alignbit_b32 v2, v69, v69, 1
	s_mov_b32 s13, 0
	s_mov_b32 s49, -1
	s_delay_alu instid0(VALU_DEP_1) | instskip(SKIP_1) | instid1(VALU_DEP_2)
	v_readfirstlane_b32 s14, v2
	v_readfirstlane_b32 s48, v2
	s_and_b32 s47, s14, 0x7fffffff
	s_mov_b32 s14, 0
	s_branch .LBB4_647
.LBB4_645:                              ;   in Loop: Header=BB4_558 Depth=2
	s_mov_b32 s13, -1
	s_branch .LBB4_681
.LBB4_646:                              ;   in Loop: Header=BB4_558 Depth=2
	s_mov_b32 s49, 0
                                        ; implicit-def: $sgpr14
                                        ; implicit-def: $sgpr48
                                        ; implicit-def: $sgpr47
.LBB4_647:                              ;   in Loop: Header=BB4_558 Depth=2
	s_and_not1_b32 vcc_lo, exec_lo, s13
	s_cbranch_vccnz .LBB4_665
; %bb.648:                              ;   in Loop: Header=BB4_558 Depth=2
	v_ashrrev_i32_e32 v2, 31, v149
	v_alignbit_b32 v8, v69, v69, 1
	s_mov_b32 s50, exec_lo
	s_delay_alu instid0(VALU_DEP_2) | instskip(NEXT) | instid1(VALU_DEP_2)
	v_lshrrev_b32_e32 v2, 22, v2
	v_readfirstlane_b32 s13, v8
	v_readfirstlane_b32 s48, v8
	s_delay_alu instid0(VALU_DEP_3) | instskip(NEXT) | instid1(VALU_DEP_3)
	v_add_nc_u32_e32 v2, v149, v2
	s_and_b32 s47, s13, 0x7fffffff
	s_delay_alu instid0(VALU_DEP_1) | instskip(NEXT) | instid1(VALU_DEP_1)
	v_ashrrev_i32_e32 v150, 10, v2
	v_sub_nc_u32_e32 v2, v150, v99
	s_delay_alu instid0(VALU_DEP_1)
	v_cmpx_lt_i32_e32 0, v2
	s_cbranch_execz .LBB4_653
; %bb.649:                              ;   in Loop: Header=BB4_558 Depth=2
	v_cvt_f32_u32_e32 v8, s47
	s_sub_i32 s14, 0, s47
	s_mov_b32 s51, 0
	s_delay_alu instid0(VALU_DEP_1) | instskip(SKIP_2) | instid1(VALU_DEP_1)
	v_rcp_iflag_f32_e32 v8, v8
	s_waitcnt_depctr 0xfff
	v_mul_f32_e32 v8, 0x4f7ffffe, v8
	v_cvt_u32_f32_e32 v8, v8
	s_delay_alu instid0(VALU_DEP_1) | instskip(NEXT) | instid1(VALU_DEP_1)
	v_readfirstlane_b32 s13, v8
	s_mul_i32 s14, s14, s13
	s_delay_alu instid0(SALU_CYCLE_1) | instskip(NEXT) | instid1(SALU_CYCLE_1)
	s_mul_hi_u32 s14, s13, s14
	s_add_i32 s13, s13, s14
	s_delay_alu instid0(SALU_CYCLE_1) | instskip(NEXT) | instid1(SALU_CYCLE_1)
	s_mul_hi_u32 s13, s13, -1
	s_mul_i32 s14, s13, s47
	s_add_i32 s15, s13, 1
	s_not_b32 s14, s14
	s_delay_alu instid0(SALU_CYCLE_1)
	s_sub_i32 s16, s14, s47
	s_cmp_ge_u32 s14, s47
	s_cselect_b32 s13, s15, s13
	s_cselect_b32 s14, s16, s14
	s_add_i32 s15, s13, 1
	s_cmp_ge_u32 s14, s47
	s_cselect_b32 s52, s15, s13
	s_cbranch_execnz .LBB4_1748
; %bb.650:                              ;   in Loop: Header=BB4_558 Depth=2
	ds_load_b128 v[8:11], v0
	s_cmp_lt_i32 s48, 0
	s_cselect_b32 s53, -1, 0
	s_waitcnt lgkmcnt(0)
	v_add_co_u32 v70, vcc_lo, v8, v130
	v_add_co_ci_u32_e32 v71, vcc_lo, v9, v131, vcc_lo
	v_add_co_u32 v80, vcc_lo, v10, v130
	v_add_co_ci_u32_e32 v81, vcc_lo, v11, v131, vcc_lo
	s_delay_alu instid0(VALU_DEP_3) | instskip(NEXT) | instid1(VALU_DEP_2)
	v_dual_mov_b32 v83, v71 :: v_dual_mov_b32 v82, v70
	v_dual_mov_b32 v85, v81 :: v_dual_mov_b32 v84, v80
.LBB4_651:                              ;   Parent Loop BB4_51 Depth=1
                                        ;     Parent Loop BB4_558 Depth=2
                                        ; =>    This Inner Loop Header: Depth=3
	global_load_b128 v[16:19], v[70:71], off slc dlc
	global_load_b128 v[20:23], v[80:81], off slc dlc
	global_load_b128 v[8:11], v[70:71], off offset:512 slc dlc
	global_load_b128 v[12:15], v[80:81], off offset:512 slc dlc
	v_add_co_u32 v70, vcc_lo, v70, v132
	v_sub_nc_u32_e32 v2, v2, v97
	v_add_co_ci_u32_e32 v71, vcc_lo, v71, v133, vcc_lo
	v_add_co_u32 v80, vcc_lo, v80, v132
	v_add_co_ci_u32_e32 v81, vcc_lo, v81, v133, vcc_lo
	s_delay_alu instid0(VALU_DEP_4)
	v_cmp_gt_i32_e32 vcc_lo, 1, v2
	s_waitcnt vmcnt(3)
	v_and_b32_e32 v151, 0xff00ff, v16
	s_waitcnt vmcnt(2)
	v_and_b32_e32 v160, 0xff00ff, v20
	v_and_b32_e32 v16, 0xff00ff00, v16
	;; [unrolled: 1-line block ×15, first 2 shown]
	s_waitcnt vmcnt(1)
	v_and_b32_e32 v167, 0xff00ff, v8
	s_waitcnt vmcnt(0)
	v_and_b32_e32 v176, 0xff00ff, v12
	v_add_co_u32 v151, null, v160, v151
	v_and_b32_e32 v181, 0xff00ff, v11
	v_and_b32_e32 v182, 0xff00ff, v15
	;; [unrolled: 1-line block ×4, first 2 shown]
	v_add_nc_u32_e32 v16, v20, v16
	v_and_b32_e32 v177, 0xff00ff, v9
	v_and_b32_e32 v178, 0xff00ff, v13
	;; [unrolled: 1-line block ×6, first 2 shown]
	v_add_co_u32 v20, null, v162, v161
	v_add_nc_u32_e32 v17, v21, v17
	v_add_co_u32 v21, null, v164, v163
	v_add_nc_u32_e32 v18, v22, v18
	;; [unrolled: 2-line block ×3, first 2 shown]
	v_add_co_u32 v23, null, v176, v167
	v_bfe_i32 v167, v151, 0, 8
	v_and_b32_e32 v8, 0xff00ff00, v8
	v_and_b32_e32 v12, 0xff00ff00, v12
	v_add_nc_u32_e32 v11, v15, v11
	v_perm_b32 v15, v16, v151, 0x7020500
	v_add_nc_u32_e32 v9, v13, v9
	v_add_co_u32 v13, null, v180, v179
	v_bfe_i32 v179, v20, 0, 8
	v_bfe_i32 v183, v21, 0, 8
	;; [unrolled: 1-line block ×4, first 2 shown]
	v_cmp_gt_i16_e64 s13, 0, v167
	v_add_nc_u32_e32 v8, v12, v8
	v_add_co_u32 v12, null, v178, v177
	v_sub_nc_u16 v176, 0, v151
	v_lshrrev_b32_e32 v177, 8, v16
	v_lshrrev_b32_e32 v16, 24, v16
	v_and_b32_e32 v167, 0x8000, v15
	v_and_b32_e32 v15, s48, v15
	v_cmp_gt_i16_e64 s15, 0, v179
	v_cmp_gt_i16_e64 s17, 0, v183
	;; [unrolled: 1-line block ×4, first 2 shown]
	s_and_b32 s13, s53, s13
	v_and_b32_e32 v10, 0xff00ff00, v10
	v_and_b32_e32 v14, 0xff00ff00, v14
	v_perm_b32 v161, v18, v21, 0x7020500
	v_lshrrev_b32_e32 v178, 16, v151
	v_sub_nc_u16 v180, 0, v20
	v_sub_nc_u16 v40, 0, v21
	;; [unrolled: 1-line block ×5, first 2 shown]
	v_cndmask_b32_e64 v151, v151, v176, s13
	v_cmp_lt_i32_e64 s14, -1, v15
	v_perm_b32 v160, v17, v20, 0x7020500
	s_and_b32 s15, s53, s15
	s_and_b32 s17, s53, s17
	;; [unrolled: 1-line block ×4, first 2 shown]
	v_add_nc_u32_e32 v10, v14, v10
	v_add_co_u32 v14, null, v182, v181
	v_perm_b32 v162, v19, v22, 0x7020500
	v_perm_b32 v163, v8, v23, 0x7020500
	v_lshrrev_b32_e32 v182, 16, v20
	v_lshrrev_b32_e32 v42, 16, v21
	;; [unrolled: 1-line block ×4, first 2 shown]
	v_and_b32_e32 v183, 0x8000, v161
	v_cndmask_b32_e64 v15, v90, v16, s14
	v_cndmask_b32_e64 v16, v20, v180, s15
	;; [unrolled: 1-line block ×5, first 2 shown]
	v_and_b32_e32 v23, 0xff, v151
	v_lshrrev_b32_e32 v181, 8, v17
	v_lshrrev_b32_e32 v17, 24, v17
	;; [unrolled: 1-line block ×3, first 2 shown]
	v_and_b32_e32 v179, 0x8000, v160
	v_and_b32_e32 v160, s48, v160
	v_cmp_ne_u32_e64 s34, 0, v183
	v_mul_hi_u32 v183, v23, s52
	v_and_b32_e32 v15, 0xff, v15
	v_sub_nc_u16 v94, 0, v17
	v_sub_nc_u16 v95, 0, v41
	v_and_b32_e32 v47, 0x8000, v163
	v_and_b32_e32 v163, s48, v163
	v_cmp_lt_i32_e64 s16, -1, v160
	v_bfe_i32 v104, v42, 0, 8
	s_and_b32 s34, s53, s34
	v_mul_hi_u32 v40, v15, s52
	v_and_b32_e32 v16, 0xff, v16
	v_perm_b32 v164, v9, v12, 0x7020500
	v_bfe_i32 v59, v12, 0, 8
	v_cndmask_b32_e64 v17, v94, v17, s16
	v_cmp_lt_i32_e64 s22, -1, v163
	v_cndmask_b32_e64 v163, v41, v95, s34
	v_mul_lo_u32 v95, s47, v183
	v_lshrrev_b32_e32 v18, 24, v18
	v_and_b32_e32 v161, s48, v161
	v_cmp_gt_i16_e64 s35, 0, v104
	v_mul_hi_u32 v41, v16, s52
	v_sub_nc_u16 v105, 0, v42
	v_cmp_gt_i16_e64 s23, 0, v59
	v_and_b32_e32 v59, 0x8000, v164
	v_and_b32_e32 v164, s48, v164
	;; [unrolled: 1-line block ×3, first 2 shown]
	v_mul_lo_u32 v104, s47, v40
	v_sub_nc_u16 v106, 0, v18
	v_cmp_lt_i32_e64 s18, -1, v161
	s_and_b32 s35, s53, s35
	v_sub_nc_u32_e32 v23, v23, v95
	v_cmp_lt_i32_e64 s24, -1, v164
	v_cndmask_b32_e64 v164, v42, v105, s35
	v_mul_hi_u32 v42, v17, s52
	v_and_b32_e32 v43, 0x8000, v162
	v_and_b32_e32 v20, 0xff, v20
	v_cndmask_b32_e64 v18, v106, v18, s18
	v_mul_lo_u32 v105, s47, v41
	v_cmp_le_u32_e64 s46, s47, v23
	v_perm_b32 v165, v10, v13, 0x7020500
	v_lshrrev_b32_e32 v45, 8, v19
	v_lshrrev_b32_e32 v19, 24, v19
	v_bfe_i32 v63, v13, 0, 8
	v_and_b32_e32 v162, s48, v162
	v_sub_nc_u32_e32 v15, v15, v104
	v_cmp_ne_u32_e64 s36, 0, v43
	v_mul_hi_u32 v43, v20, s52
	v_and_b32_e32 v18, 0xff, v18
	v_mul_lo_u32 v106, s47, v42
	v_add_co_ci_u32_e64 v23, s46, 0, v183, s46
	v_sub_nc_u16 v107, 0, v45
	v_sub_nc_u16 v110, 0, v19
	v_cmp_gt_i16_e64 s25, 0, v63
	v_and_b32_e32 v63, 0x8000, v165
	v_and_b32_e32 v165, s48, v165
	v_cmp_lt_i32_e64 s20, -1, v162
	v_cmp_le_u32_e64 s46, s47, v15
	v_sub_nc_u32_e32 v16, v16, v105
	v_bfe_i32 v108, v46, 0, 8
	s_and_b32 s36, s53, s36
	v_mul_hi_u32 v44, v18, s52
	v_and_b32_e32 v21, 0xff, v21
	v_perm_b32 v166, v11, v14, 0x7020500
	v_bfe_i32 v75, v14, 0, 8
	v_cndmask_b32_e64 v19, v110, v19, s20
	v_cmp_lt_i32_e64 s26, -1, v165
	v_cndmask_b32_e64 v165, v45, v107, s36
	v_mul_lo_u32 v107, s47, v43
	v_add_co_ci_u32_e64 v15, s46, 0, v40, s46
	v_cmp_le_u32_e64 s46, s47, v16
	v_lshrrev_b32_e32 v57, 8, v8
	v_lshrrev_b32_e32 v8, 24, v8
	v_sub_nc_u32_e32 v17, v17, v106
	v_cmp_gt_i16_e64 s37, 0, v108
	v_mul_hi_u32 v45, v21, s52
	v_sub_nc_u16 v109, 0, v46
	v_cmp_gt_i16_e64 s27, 0, v75
	v_and_b32_e32 v75, 0x8000, v166
	v_and_b32_e32 v166, s48, v166
	;; [unrolled: 1-line block ×3, first 2 shown]
	v_mul_lo_u32 v108, s47, v44
	v_add_co_ci_u32_e64 v16, s46, 0, v41, s46
	v_sub_nc_u16 v122, 0, v8
	v_cmp_le_u32_e64 s46, s47, v17
	s_and_b32 s37, s53, s37
	v_sub_nc_u32_e32 v20, v20, v107
	v_cmp_lt_i32_e64 s28, -1, v166
	v_cndmask_b32_e64 v166, v46, v109, s37
	v_mul_hi_u32 v46, v19, s52
	v_and_b32_e32 v22, 0xff, v22
	v_cndmask_b32_e64 v8, v122, v8, s22
	v_mul_lo_u32 v109, s47, v45
	v_add_co_ci_u32_e64 v17, s46, 0, v42, s46
	v_sub_nc_u16 v60, 0, v12
	v_cmp_le_u32_e64 s46, s47, v20
	v_lshrrev_b32_e32 v61, 8, v9
	v_lshrrev_b32_e32 v9, 24, v9
	v_sub_nc_u32_e32 v18, v18, v108
	v_cmp_ne_u32_e64 s38, 0, v47
	s_and_b32 s23, s53, s23
	v_mul_hi_u32 v47, v22, s52
	v_and_b32_e32 v8, 0xff, v8
	v_lshrrev_b32_e32 v62, 16, v12
	v_cndmask_b32_e64 v12, v12, v60, s23
	v_mul_lo_u32 v110, s47, v46
	v_add_co_ci_u32_e64 v20, s46, 0, v43, s46
	v_sub_nc_u16 v111, 0, v57
	v_sub_nc_u16 v126, 0, v9
	v_cmp_le_u32_e64 s46, s47, v18
	v_sub_nc_u32_e32 v21, v21, v109
	v_bfe_i32 v120, v58, 0, 8
	s_and_b32 s38, s53, s38
	v_mul_hi_u32 v56, v8, s52
	v_and_b32_e32 v12, 0xff, v12
	v_cmp_ne_u32_e64 s29, 0, v167
	v_cndmask_b32_e64 v9, v126, v9, s24
	v_cndmask_b32_e64 v167, v57, v111, s38
	v_mul_lo_u32 v111, s47, v47
	v_add_co_ci_u32_e64 v18, s46, 0, v44, s46
	v_sub_nc_u16 v72, 0, v13
	v_cmp_le_u32_e64 s46, s47, v21
	v_lshrrev_b32_e32 v73, 8, v10
	v_lshrrev_b32_e32 v10, 24, v10
	v_sub_nc_u32_e32 v19, v19, v110
	v_cmp_gt_i16_e64 s39, 0, v120
	s_and_b32 s25, s53, s25
	v_mul_hi_u32 v57, v12, s52
	v_sub_nc_u16 v121, 0, v58
	v_and_b32_e32 v9, 0xff, v9
	v_lshrrev_b32_e32 v74, 16, v13
	v_cndmask_b32_e64 v13, v13, v72, s25
	v_mul_lo_u32 v120, s47, v56
	v_add_co_ci_u32_e64 v21, s46, 0, v45, s46
	v_sub_nc_u16 v138, 0, v10
	v_cmp_le_u32_e64 s46, s47, v19
	s_and_b32 s39, s53, s39
	v_sub_nc_u32_e32 v22, v22, v111
	v_cndmask_b32_e64 v176, v58, v121, s39
	v_mul_hi_u32 v58, v9, s52
	v_and_b32_e32 v13, 0xff, v13
	v_cndmask_b32_e64 v10, v138, v10, s26
	v_mul_lo_u32 v121, s47, v57
	v_add_co_ci_u32_e64 v19, s46, 0, v46, s46
	v_sub_nc_u16 v76, 0, v14
	v_cmp_le_u32_e64 s46, s47, v22
	v_lshrrev_b32_e32 v77, 8, v11
	v_lshrrev_b32_e32 v11, 24, v11
	v_sub_nc_u32_e32 v8, v8, v120
	v_cmp_ne_u32_e64 s40, 0, v59
	s_and_b32 s27, s53, s27
	v_mul_hi_u32 v59, v13, s52
	v_and_b32_e32 v10, 0xff, v10
	v_lshrrev_b32_e32 v78, 16, v14
	v_cndmask_b32_e64 v14, v14, v76, s27
	v_mul_lo_u32 v122, s47, v58
	v_add_co_ci_u32_e64 v22, s46, 0, v47, s46
	v_sub_nc_u16 v79, 0, v177
	v_sub_nc_u16 v123, 0, v61
	;; [unrolled: 1-line block ×3, first 2 shown]
	v_cmp_le_u32_e64 s46, s47, v8
	v_sub_nc_u32_e32 v12, v12, v121
	v_bfe_i32 v88, v178, 0, 8
	v_bfe_i32 v124, v62, 0, 8
	s_and_b32 s29, s53, s29
	s_and_b32 s40, s53, s40
	v_mul_hi_u32 v60, v10, s52
	v_and_b32_e32 v14, 0xff, v14
	v_cndmask_b32_e64 v11, v142, v11, s28
	v_cndmask_b32_e64 v151, v177, v79, s29
	;; [unrolled: 1-line block ×3, first 2 shown]
	v_mul_lo_u32 v123, s47, v59
	v_add_co_ci_u32_e64 v8, s46, 0, v56, s46
	v_cmp_le_u32_e64 s46, s47, v12
	v_sub_nc_u32_e32 v9, v9, v122
	v_cmp_gt_i16_e64 vcc_hi, 0, v88
	v_cmp_gt_i16_e64 s41, 0, v124
	v_mul_hi_u32 v61, v14, s52
	v_sub_nc_u16 v89, 0, v178
	v_sub_nc_u16 v125, 0, v62
	v_and_b32_e32 v11, 0xff, v11
	v_mul_lo_u32 v124, s47, v60
	v_add_co_ci_u32_e64 v12, s46, 0, v57, s46
	v_cmp_le_u32_e64 s46, s47, v9
	s_and_b32 vcc_hi, s53, vcc_hi
	s_and_b32 s41, s53, s41
	v_sub_nc_u32_e32 v13, v13, v123
	v_cndmask_b32_e64 v160, v178, v89, vcc_hi
	v_cndmask_b32_e64 v178, v62, v125, s41
	v_mul_hi_u32 v62, v11, s52
	v_cmp_ne_u32_e64 s30, 0, v179
	v_and_b32_e32 v151, 0xff, v151
	v_bfe_i32 v92, v182, 0, 8
	v_mul_lo_u32 v125, s47, v61
	v_add_co_ci_u32_e64 v9, s46, 0, v58, s46
	v_sub_nc_u16 v91, 0, v181
	v_cmp_le_u32_e64 s46, s47, v13
	v_sub_nc_u32_e32 v10, v10, v124
	v_cmp_ne_u32_e64 s42, 0, v63
	s_and_b32 s30, s53, s30
	v_mul_hi_u32 v63, v151, s52
	v_cmp_gt_i16_e64 s31, 0, v92
	v_and_b32_e32 v160, 0xff, v160
	v_cndmask_b32_e64 v161, v181, v91, s30
	v_mul_lo_u32 v126, s47, v62
	v_add_co_ci_u32_e64 v13, s46, 0, v59, s46
	v_sub_nc_u16 v93, 0, v182
	v_sub_nc_u16 v127, 0, v73
	v_cmp_le_u32_e64 s46, s47, v10
	v_sub_nc_u32_e32 v14, v14, v125
	v_bfe_i32 v136, v74, 0, 8
	s_and_b32 s31, s53, s31
	s_and_b32 s42, s53, s42
	v_mul_hi_u32 v72, v160, s52
	v_and_b32_e32 v161, 0xff, v161
	v_cndmask_b32_e64 v162, v182, v93, s31
	v_cndmask_b32_e64 v179, v73, v127, s42
	v_mul_lo_u32 v127, s47, v63
	v_add_co_ci_u32_e64 v10, s46, 0, v60, s46
	v_cmp_le_u32_e64 s46, s47, v14
	v_sub_nc_u32_e32 v11, v11, v126
	v_cmp_gt_i16_e64 s43, 0, v136
	v_mul_hi_u32 v73, v161, s52
	v_sub_nc_u16 v137, 0, v74
	v_and_b32_e32 v162, 0xff, v162
	v_mul_lo_u32 v136, s47, v72
	v_add_co_ci_u32_e64 v14, s46, 0, v61, s46
	v_cmp_le_u32_e64 s46, s47, v11
	s_and_b32 s43, s53, s43
	v_sub_nc_u32_e32 v151, v151, v127
	v_cndmask_b32_e64 v180, v74, v137, s43
	v_mul_hi_u32 v74, v162, s52
	v_and_b32_e32 v163, 0xff, v163
	v_mul_lo_u32 v137, s47, v73
	v_add_co_ci_u32_e64 v11, s46, 0, v62, s46
	v_cmp_le_u32_e64 s46, s47, v151
	v_sub_nc_u32_e32 v160, v160, v136
	v_cmp_ne_u32_e64 s44, 0, v75
	v_mul_hi_u32 v75, v163, s52
	v_and_b32_e32 v164, 0xff, v164
	v_mul_lo_u32 v138, s47, v74
	v_add_co_ci_u32_e64 v151, s46, 0, v63, s46
	v_sub_nc_u16 v139, 0, v77
	v_cmp_le_u32_e64 s46, s47, v160
	v_sub_nc_u32_e32 v161, v161, v137
	v_bfe_i32 v140, v78, 0, 8
	s_and_b32 s44, s53, s44
	v_mul_hi_u32 v76, v164, s52
	v_and_b32_e32 v165, 0xff, v165
	v_cndmask_b32_e64 v181, v77, v139, s44
	v_mul_lo_u32 v139, s47, v75
	v_add_co_ci_u32_e64 v160, s46, 0, v72, s46
	v_cmp_le_u32_e64 s46, s47, v161
	v_sub_nc_u32_e32 v162, v162, v138
	v_cmp_gt_i16_e64 s45, 0, v140
	v_mul_hi_u32 v77, v165, s52
	v_sub_nc_u16 v141, 0, v78
	v_and_b32_e32 v166, 0xff, v166
	v_mul_lo_u32 v140, s47, v76
	v_add_co_ci_u32_e64 v161, s46, 0, v73, s46
	v_cmp_le_u32_e64 s46, s47, v162
	s_and_b32 s45, s53, s45
	v_sub_nc_u32_e32 v163, v163, v139
	v_cndmask_b32_e64 v182, v78, v141, s45
	v_mul_hi_u32 v78, v166, s52
	v_and_b32_e32 v167, 0xff, v167
	v_mul_lo_u32 v141, s47, v77
	v_add_co_ci_u32_e64 v162, s46, 0, v74, s46
	v_cmp_le_u32_e64 s46, s47, v163
	v_sub_nc_u32_e32 v164, v164, v140
	v_mul_hi_u32 v79, v167, s52
	v_and_b32_e32 v176, 0xff, v176
	v_mul_lo_u32 v142, s47, v78
	v_add_co_ci_u32_e64 v163, s46, 0, v75, s46
	v_cmp_le_u32_e64 s46, s47, v164
	v_sub_nc_u32_e32 v165, v165, v141
	;; [unrolled: 6-line block ×8, first 2 shown]
	v_mul_hi_u32 v94, v182, s52
	v_mul_lo_u32 v157, s47, v93
	v_sub_nc_u32_e32 v183, 0, v23
	v_add_co_ci_u32_e64 v178, s46, 0, v90, s46
	v_cmp_le_u32_e64 s46, s47, v179
	v_sub_nc_u32_e32 v180, v180, v156
	v_sub_nc_u32_e32 v40, 0, v15
	v_mul_lo_u32 v158, s47, v94
	v_sub_nc_u32_e32 v181, v181, v157
	v_add_co_ci_u32_e64 v179, s46, 0, v91, s46
	v_cmp_le_u32_e64 s46, s47, v180
	v_sub_nc_u32_e32 v41, 0, v16
	v_sub_nc_u32_e32 v42, 0, v17
	v_sub_nc_u32_e32 v43, 0, v20
	v_sub_nc_u32_e32 v182, v182, v158
	v_add_co_ci_u32_e64 v180, s46, 0, v92, s46
	v_cmp_le_u32_e64 s46, s47, v181
	v_sub_nc_u32_e32 v44, 0, v18
	v_sub_nc_u32_e32 v45, 0, v21
	v_sub_nc_u32_e32 v46, 0, v19
	;; [unrolled: 6-line block ×3, first 2 shown]
	v_sub_nc_u32_e32 v59, 0, v13
	v_sub_nc_u32_e32 v60, 0, v10
	;; [unrolled: 1-line block ×3, first 2 shown]
	v_add_co_ci_u32_e64 v182, s46, 0, v94, s46
	v_sub_nc_u32_e32 v62, 0, v11
	v_cndmask_b32_e64 v23, v23, v183, s13
	v_sub_nc_u32_e32 v183, 0, v151
	v_sub_nc_u32_e32 v63, 0, v160
	v_cndmask_b32_e64 v15, v40, v15, s14
	v_cndmask_b32_e64 v16, v16, v41, s15
	v_sub_nc_u32_e32 v40, 0, v161
	v_sub_nc_u32_e32 v41, 0, v162
	v_cndmask_b32_e64 v17, v42, v17, s16
	;; [unrolled: 4-line block ×8, first 2 shown]
	v_cndmask_b32_e64 v151, v151, v183, s29
	v_cndmask_b32_e64 v160, v160, v63, vcc_hi
	v_cndmask_b32_e64 v161, v161, v40, s30
	v_cndmask_b32_e64 v162, v162, v41, s31
	;; [unrolled: 1-line block ×8, first 2 shown]
	v_lshlrev_b32_e32 v183, 24, v8
	v_cndmask_b32_e64 v8, v177, v56, s40
	v_cndmask_b32_e64 v177, v178, v57, s41
	v_lshlrev_b32_e32 v178, 24, v9
	v_cndmask_b32_e64 v9, v179, v58, s42
	v_cndmask_b32_e64 v179, v180, v59, s43
	;; [unrolled: 3-line block ×3, first 2 shown]
	v_lshlrev_b32_e32 v182, 24, v11
	v_lshlrev_b32_e32 v11, 8, v151
	v_and_b32_e32 v151, 0xff, v160
	v_lshlrev_b32_e32 v160, 8, v161
	v_and_b32_e32 v161, 0xff, v162
	;; [unrolled: 2-line block ×8, first 2 shown]
	v_lshlrev_b32_e32 v15, 24, v15
	v_lshlrev_b32_e32 v17, 24, v17
	;; [unrolled: 1-line block ×5, first 2 shown]
	v_perm_b32 v11, v11, v23, 0xc0c0500
	v_lshlrev_b32_e32 v23, 16, v161
	v_perm_b32 v16, v160, v16, 0xc0c0500
	v_lshlrev_b32_e32 v160, 16, v163
	;; [unrolled: 2-line block ×7, first 2 shown]
	v_perm_b32 v176, v10, v14, 0xc0c0500
	v_or3_b32 v8, v15, v151, v11
	v_or3_b32 v9, v17, v23, v16
	;; [unrolled: 1-line block ×8, first 2 shown]
	s_clause 0x1
	global_store_b128 v[82:83], v[8:11], off glc slc dlc
	global_store_b128 v[82:83], v[12:15], off offset:512 glc slc dlc
	s_clause 0x1
	global_store_b128 v[84:85], v[8:11], off glc slc dlc
	global_store_b128 v[84:85], v[12:15], off offset:512 glc slc dlc
	v_add_co_u32 v82, s13, v82, v132
	s_delay_alu instid0(VALU_DEP_1) | instskip(SKIP_1) | instid1(VALU_DEP_1)
	v_add_co_ci_u32_e64 v83, s13, v83, v133, s13
	v_add_co_u32 v84, s13, v84, v132
	v_add_co_ci_u32_e64 v85, s13, v85, v133, s13
	s_or_b32 s51, vcc_lo, s51
	s_delay_alu instid0(SALU_CYCLE_1)
	s_and_not1_b32 exec_lo, exec_lo, s51
	s_cbranch_execnz .LBB4_651
; %bb.652:                              ;   in Loop: Header=BB4_558 Depth=2
	s_or_b32 exec_lo, exec_lo, s51
.LBB4_653:                              ;   in Loop: Header=BB4_558 Depth=2
	s_delay_alu instid0(SALU_CYCLE_1) | instskip(SKIP_2) | instid1(VALU_DEP_1)
	s_or_b32 exec_lo, exec_lo, s50
	v_lshlrev_b32_e32 v20, 10, v150
	s_mov_b32 vcc_hi, exec_lo
                                        ; implicit-def: $vgpr17
                                        ; implicit-def: $vgpr16
                                        ; implicit-def: $vgpr18
                                        ; implicit-def: $vgpr8
	v_cmpx_ne_u32_e64 v149, v20
	s_cbranch_execz .LBB4_664
; %bb.654:                              ;   in Loop: Header=BB4_558 Depth=2
	v_lshlrev_b32_e32 v2, 5, v2
	v_sub_nc_u32_e32 v9, v149, v20
	s_mov_b32 s30, exec_lo
	s_delay_alu instid0(VALU_DEP_2) | instskip(NEXT) | instid1(VALU_DEP_2)
	v_sub_nc_u32_e32 v2, v100, v2
	v_ashrrev_i32_e32 v10, 31, v9
	s_delay_alu instid0(VALU_DEP_2) | instskip(NEXT) | instid1(VALU_DEP_2)
	v_ashrrev_i32_e32 v8, 31, v2
	v_lshrrev_b32_e32 v10, 23, v10
	s_delay_alu instid0(VALU_DEP_2) | instskip(NEXT) | instid1(VALU_DEP_2)
	v_lshrrev_b32_e32 v8, 27, v8
	v_add_nc_u32_e32 v10, v9, v10
	s_delay_alu instid0(VALU_DEP_2) | instskip(NEXT) | instid1(VALU_DEP_1)
	v_add_nc_u32_e32 v8, v2, v8
	v_and_b32_e32 v11, 0xffffffe0, v8
	s_delay_alu instid0(VALU_DEP_1) | instskip(NEXT) | instid1(VALU_DEP_4)
	v_sub_nc_u32_e32 v21, v2, v11
	v_and_b32_e32 v2, 0xfffffe00, v10
	v_ashrrev_i32_e32 v11, 5, v8
	v_ashrrev_i32_e32 v10, 9, v10
	s_delay_alu instid0(VALU_DEP_4) | instskip(NEXT) | instid1(VALU_DEP_4)
	v_lshlrev_b32_e32 v8, 4, v21
	v_sub_nc_u32_e32 v22, v9, v2
	s_delay_alu instid0(VALU_DEP_2) | instskip(NEXT) | instid1(VALU_DEP_2)
	v_lshl_add_u32 v8, v11, 9, v8
	v_cmp_lt_i32_e64 s13, 15, v22
	s_delay_alu instid0(VALU_DEP_2) | instskip(NEXT) | instid1(VALU_DEP_2)
	v_sub_nc_u32_e32 v70, v9, v8
	v_add_co_ci_u32_e64 v10, vcc_lo, 0, v10, s13
	s_delay_alu instid0(VALU_DEP_1) | instskip(NEXT) | instid1(VALU_DEP_3)
	v_sub_nc_u32_e32 v23, v10, v11
	v_cmpx_lt_i32_e32 15, v70
	s_cbranch_execz .LBB4_661
; %bb.655:                              ;   in Loop: Header=BB4_558 Depth=2
	v_cvt_f32_u32_e32 v9, s47
	s_sub_i32 s15, 0, s47
	s_mov_b32 s31, 0
	s_delay_alu instid0(VALU_DEP_1) | instskip(SKIP_2) | instid1(VALU_DEP_1)
	v_rcp_iflag_f32_e32 v9, v9
	s_waitcnt_depctr 0xfff
	v_mul_f32_e32 v9, 0x4f7ffffe, v9
	v_cvt_u32_f32_e32 v9, v9
	s_delay_alu instid0(VALU_DEP_1) | instskip(NEXT) | instid1(VALU_DEP_1)
	v_readfirstlane_b32 s14, v9
	s_mul_i32 s15, s15, s14
	s_delay_alu instid0(SALU_CYCLE_1) | instskip(NEXT) | instid1(SALU_CYCLE_1)
	s_mul_hi_u32 s15, s14, s15
	s_add_i32 s14, s14, s15
	s_delay_alu instid0(SALU_CYCLE_1) | instskip(NEXT) | instid1(SALU_CYCLE_1)
	s_mul_hi_u32 s14, s14, -1
	s_mul_i32 s15, s14, s47
	s_add_i32 s16, s14, 1
	s_not_b32 s15, s15
	s_delay_alu instid0(SALU_CYCLE_1)
	s_sub_i32 s17, s15, s47
	s_cmp_ge_u32 s15, s47
	s_cselect_b32 s14, s16, s14
	s_cselect_b32 s15, s17, s15
	s_add_i32 s16, s14, 1
	s_cmp_ge_u32 s15, s47
	s_cselect_b32 s34, s16, s14
	s_cbranch_execnz .LBB4_1808
; %bb.656:                              ;   in Loop: Header=BB4_558 Depth=2
	ds_load_b128 v[12:15], v0
	v_add_nc_u32_e32 v8, v8, v20
	s_cmp_lt_i32 s48, 0
	s_cselect_b32 s35, -1, 0
	s_delay_alu instid0(VALU_DEP_1) | instskip(SKIP_2) | instid1(VALU_DEP_2)
	v_ashrrev_i32_e32 v9, 31, v8
	s_waitcnt lgkmcnt(0)
	v_add_co_u32 v12, vcc_lo, v12, v8
	v_add_co_ci_u32_e32 v13, vcc_lo, v13, v9, vcc_lo
	s_delay_alu instid0(VALU_DEP_1) | instskip(SKIP_2) | instid1(VALU_DEP_1)
	v_mov_b32_e32 v17, v13
	v_add_co_u32 v14, vcc_lo, v14, v8
	v_add_co_ci_u32_e32 v15, vcc_lo, v15, v9, vcc_lo
	v_dual_mov_b32 v16, v12 :: v_dual_mov_b32 v19, v15
	s_delay_alu instid0(VALU_DEP_3)
	v_mov_b32_e32 v18, v14
.LBB4_657:                              ;   Parent Loop BB4_51 Depth=1
                                        ;     Parent Loop BB4_558 Depth=2
                                        ; =>    This Loop Header: Depth=3
                                        ;         Child Loop BB4_658 Depth 4
	global_load_b128 v[8:11], v[16:17], off slc dlc
	global_load_b128 v[80:83], v[18:19], off slc dlc
	s_waitcnt vmcnt(1)
	v_and_b32_e32 v71, 0xff00ff, v8
	s_waitcnt vmcnt(0)
	v_and_b32_e32 v84, 0xff00ff, v80
	v_and_b32_e32 v85, 0xff00ff, v9
	;; [unrolled: 1-line block ×5, first 2 shown]
	v_add_co_u32 v71, null, v84, v71
	v_and_b32_e32 v150, 0xff00ff, v81
	v_and_b32_e32 v81, 0xff00ff00, v81
	;; [unrolled: 1-line block ×6, first 2 shown]
	v_add_nc_u32_e32 v9, v81, v9
	v_add_co_u32 v81, null, v160, v151
	v_bfe_i32 v151, v71, 0, 8
	v_and_b32_e32 v11, 0xff00ff00, v11
	v_and_b32_e32 v83, 0xff00ff00, v83
	v_add_nc_u32_e32 v8, v80, v8
	v_and_b32_e32 v10, 0xff00ff00, v10
	v_cmp_gt_i16_e64 vcc_lo, 0, v151
	v_and_b32_e32 v82, 0xff00ff00, v82
	v_sub_nc_u16 v160, 0, v71
	v_add_nc_u32_e32 v11, v83, v11
	v_perm_b32 v83, v8, v71, 0x7020500
	s_and_b32 vcc_lo, s35, vcc_lo
	v_add_nc_u32_e32 v10, v82, v10
	v_add_co_u32 v82, null, v162, v161
	v_lshrrev_b32_e32 v162, 16, v71
	v_cndmask_b32_e32 v71, v71, v160, vcc_lo
	v_add_co_u32 v80, null, v150, v85
	v_lshrrev_b32_e32 v161, 8, v8
	v_lshrrev_b32_e32 v8, 24, v8
	v_and_b32_e32 v151, 0x8000, v83
	v_and_b32_e32 v83, s48, v83
	v_perm_b32 v84, v9, v80, 0x7020500
	v_bfe_i32 v163, v80, 0, 8
	v_sub_nc_u16 v42, 0, v8
	v_and_b32_e32 v71, 0xff, v71
	v_cmp_lt_i32_e64 s19, -1, v83
	v_sub_nc_u16 v164, 0, v80
	v_cmp_gt_i16_e64 s14, 0, v163
	v_and_b32_e32 v163, 0x8000, v84
	v_perm_b32 v85, v10, v81, 0x7020500
	v_cndmask_b32_e64 v8, v42, v8, s19
	v_lshrrev_b32_e32 v165, 8, v9
	v_lshrrev_b32_e32 v9, 24, v9
	v_bfe_i32 v167, v81, 0, 8
	v_and_b32_e32 v84, s48, v84
	s_and_b32 s14, s35, s14
	v_cmp_ne_u32_e64 s20, 0, v163
	v_mul_hi_u32 v163, v71, s34
	v_lshrrev_b32_e32 v166, 16, v80
	v_and_b32_e32 v8, 0xff, v8
	v_cndmask_b32_e64 v80, v80, v164, s14
	v_sub_nc_u16 v43, 0, v165
	v_sub_nc_u16 v46, 0, v9
	v_cmp_gt_i16_e64 s15, 0, v167
	v_and_b32_e32 v167, 0x8000, v85
	v_and_b32_e32 v85, s48, v85
	v_cmp_lt_i32_e64 s22, -1, v84
	v_bfe_i32 v44, v166, 0, 8
	s_and_b32 s20, s35, s20
	v_mul_hi_u32 v164, v8, s34
	v_and_b32_e32 v80, 0xff, v80
	v_perm_b32 v150, v11, v82, 0x7020500
	v_bfe_i32 v179, v82, 0, 8
	v_cndmask_b32_e64 v9, v46, v9, s22
	v_cmp_lt_i32_e64 s25, -1, v85
	v_cndmask_b32_e64 v85, v165, v43, s20
	v_mul_lo_u32 v43, s47, v163
	v_sub_nc_u16 v176, 0, v81
	v_lshrrev_b32_e32 v177, 8, v10
	v_lshrrev_b32_e32 v10, 24, v10
	v_cmp_gt_i16_e64 s21, 0, v44
	s_and_b32 s15, s35, s15
	v_mul_hi_u32 v165, v80, s34
	v_sub_nc_u16 v45, 0, v166
	v_cmp_gt_i16_e64 s16, 0, v179
	v_and_b32_e32 v179, 0x8000, v150
	v_and_b32_e32 v150, s48, v150
	;; [unrolled: 1-line block ×3, first 2 shown]
	v_lshrrev_b32_e32 v178, 16, v81
	v_cndmask_b32_e64 v81, v81, v176, s15
	v_mul_lo_u32 v44, s47, v164
	v_sub_nc_u16 v58, 0, v10
	s_and_b32 s21, s35, s21
	v_sub_nc_u32_e32 v71, v71, v43
	v_cmp_lt_i32_e64 s28, -1, v150
	v_cndmask_b32_e64 v150, v166, v45, s21
	v_mul_hi_u32 v166, v9, s34
	v_and_b32_e32 v81, 0xff, v81
	v_cndmask_b32_e64 v10, v58, v10, s25
	v_mul_lo_u32 v45, s47, v165
	v_sub_nc_u16 v180, 0, v82
	v_cmp_le_u32_e64 s29, s47, v71
	v_lshrrev_b32_e32 v181, 8, v11
	v_lshrrev_b32_e32 v11, 24, v11
	v_sub_nc_u32_e32 v8, v8, v44
	v_cmp_ne_u32_e64 s23, 0, v167
	s_and_b32 s16, s35, s16
	v_mul_hi_u32 v167, v81, s34
	v_and_b32_e32 v10, 0xff, v10
	v_lshrrev_b32_e32 v182, 16, v82
	v_cndmask_b32_e64 v82, v82, v180, s16
	v_mul_lo_u32 v46, s47, v166
	v_add_co_ci_u32_e64 v71, s29, 0, v163, s29
	v_sub_nc_u16 v47, 0, v177
	v_sub_nc_u16 v62, 0, v11
	v_cmp_le_u32_e64 s29, s47, v8
	v_sub_nc_u32_e32 v80, v80, v45
	v_bfe_i32 v56, v178, 0, 8
	s_and_b32 s23, s35, s23
	v_mul_hi_u32 v176, v10, s34
	v_cmp_ne_u32_e64 s17, 0, v151
	v_and_b32_e32 v82, 0xff, v82
	v_bfe_i32 v40, v162, 0, 8
	v_cndmask_b32_e64 v11, v62, v11, s28
	v_cndmask_b32_e64 v151, v177, v47, s23
	v_mul_lo_u32 v47, s47, v167
	v_add_co_ci_u32_e64 v8, s29, 0, v164, s29
	v_sub_nc_u16 v183, 0, v161
	v_cmp_le_u32_e64 s29, s47, v80
	v_sub_nc_u32_e32 v9, v9, v46
	v_cmp_gt_i16_e64 s24, 0, v56
	s_and_b32 s17, s35, s17
	v_mul_hi_u32 v177, v82, s34
	v_sub_nc_u16 v57, 0, v178
	v_cmp_gt_i16_e64 s18, 0, v40
	v_and_b32_e32 v11, 0xff, v11
	v_cndmask_b32_e64 v83, v161, v183, s17
	v_mul_lo_u32 v56, s47, v176
	v_add_co_ci_u32_e64 v80, s29, 0, v165, s29
	v_sub_nc_u16 v41, 0, v162
	v_cmp_le_u32_e64 s29, s47, v9
	s_and_b32 s24, s35, s24
	v_sub_nc_u32_e32 v81, v81, v47
	s_and_b32 s18, s35, s18
	v_cndmask_b32_e64 v160, v178, v57, s24
	v_mul_hi_u32 v178, v11, s34
	v_and_b32_e32 v83, 0xff, v83
	v_cndmask_b32_e64 v84, v162, v41, s18
	v_mul_lo_u32 v57, s47, v177
	v_add_co_ci_u32_e64 v9, s29, 0, v166, s29
	v_cmp_le_u32_e64 s29, s47, v81
	v_sub_nc_u32_e32 v10, v10, v56
	v_cmp_ne_u32_e64 s26, 0, v179
	v_mul_hi_u32 v179, v83, s34
	v_and_b32_e32 v84, 0xff, v84
	v_mul_lo_u32 v58, s47, v178
	v_add_co_ci_u32_e64 v81, s29, 0, v167, s29
	v_sub_nc_u16 v59, 0, v181
	v_cmp_le_u32_e64 s29, s47, v10
	v_sub_nc_u32_e32 v82, v82, v57
	v_bfe_i32 v60, v182, 0, 8
	s_and_b32 s26, s35, s26
	v_mul_hi_u32 v180, v84, s34
	v_and_b32_e32 v85, 0xff, v85
	v_cndmask_b32_e64 v161, v181, v59, s26
	v_mul_lo_u32 v59, s47, v179
	v_add_co_ci_u32_e64 v10, s29, 0, v176, s29
	v_cmp_le_u32_e64 s29, s47, v82
	v_sub_nc_u32_e32 v11, v11, v58
	v_cmp_gt_i16_e64 s27, 0, v60
	v_mul_hi_u32 v181, v85, s34
	v_sub_nc_u16 v61, 0, v182
	v_and_b32_e32 v150, 0xff, v150
	v_mul_lo_u32 v60, s47, v180
	v_add_co_ci_u32_e64 v82, s29, 0, v177, s29
	v_cmp_le_u32_e64 s29, s47, v11
	s_and_b32 s27, s35, s27
	v_sub_nc_u32_e32 v83, v83, v59
	v_cndmask_b32_e64 v162, v182, v61, s27
	v_mul_hi_u32 v182, v150, s34
	v_and_b32_e32 v151, 0xff, v151
	v_mul_lo_u32 v61, s47, v181
	v_add_co_ci_u32_e64 v11, s29, 0, v178, s29
	v_cmp_le_u32_e64 s29, s47, v83
	v_sub_nc_u32_e32 v84, v84, v60
	v_mul_hi_u32 v183, v151, s34
	v_and_b32_e32 v160, 0xff, v160
	v_mul_lo_u32 v62, s47, v182
	v_add_co_ci_u32_e64 v83, s29, 0, v179, s29
	v_cmp_le_u32_e64 s29, s47, v84
	v_sub_nc_u32_e32 v85, v85, v61
	;; [unrolled: 6-line block ×4, first 2 shown]
	v_mul_hi_u32 v42, v162, s34
	v_mul_lo_u32 v73, s47, v41
	v_sub_nc_u32_e32 v163, 0, v71
	v_add_co_ci_u32_e64 v150, s29, 0, v182, s29
	v_cmp_le_u32_e64 s29, s47, v151
	v_sub_nc_u32_e32 v160, v160, v72
	v_sub_nc_u32_e32 v164, 0, v8
	v_mul_lo_u32 v74, s47, v42
	v_sub_nc_u32_e32 v161, v161, v73
	v_add_co_ci_u32_e64 v151, s29, 0, v183, s29
	v_cmp_le_u32_e64 s29, s47, v160
	v_sub_nc_u32_e32 v165, 0, v80
	v_sub_nc_u32_e32 v166, 0, v9
	;; [unrolled: 1-line block ×4, first 2 shown]
	v_add_co_ci_u32_e64 v160, s29, 0, v40, s29
	v_cmp_le_u32_e64 s29, s47, v161
	v_sub_nc_u32_e32 v176, 0, v10
	v_sub_nc_u32_e32 v177, 0, v82
	v_cndmask_b32_e32 v71, v71, v163, vcc_lo
	v_sub_nc_u32_e32 v163, 0, v83
	v_add_co_ci_u32_e64 v161, s29, 0, v41, s29
	v_cmp_le_u32_e64 s29, s47, v162
	v_sub_nc_u32_e32 v179, 0, v84
	v_cndmask_b32_e64 v8, v164, v8, s19
	v_cndmask_b32_e64 v80, v80, v165, s14
	v_sub_nc_u32_e32 v164, 0, v85
	v_add_co_ci_u32_e64 v162, s29, 0, v42, s29
	v_sub_nc_u32_e32 v165, 0, v150
	v_cndmask_b32_e64 v9, v166, v9, s22
	v_cndmask_b32_e64 v81, v81, v167, s15
	v_sub_nc_u32_e32 v166, 0, v151
	v_sub_nc_u32_e32 v167, 0, v160
	v_cndmask_b32_e64 v10, v176, v10, s25
	v_cndmask_b32_e64 v82, v82, v177, s16
	v_sub_nc_u32_e32 v176, 0, v161
	v_sub_nc_u32_e32 v177, 0, v162
	;; [unrolled: 1-line block ×3, first 2 shown]
	v_cndmask_b32_e64 v83, v83, v163, s17
	v_cndmask_b32_e64 v84, v84, v179, s18
	;; [unrolled: 1-line block ×9, first 2 shown]
	v_lshlrev_b32_e32 v83, 8, v83
	v_and_b32_e32 v84, 0xff, v84
	v_lshlrev_b32_e32 v85, 8, v85
	v_and_b32_e32 v150, 0xff, v150
	v_lshlrev_b32_e32 v151, 8, v151
	v_and_b32_e32 v160, 0xff, v160
	v_lshlrev_b32_e32 v161, 8, v161
	v_and_b32_e32 v162, 0xff, v162
	v_lshlrev_b32_e32 v8, 24, v8
	v_lshlrev_b32_e32 v9, 24, v9
	;; [unrolled: 1-line block ×5, first 2 shown]
	v_perm_b32 v71, v83, v71, 0xc0c0500
	v_lshlrev_b32_e32 v83, 16, v150
	v_perm_b32 v80, v85, v80, 0xc0c0500
	v_lshlrev_b32_e32 v85, 16, v160
	;; [unrolled: 2-line block ×3, first 2 shown]
	v_perm_b32 v82, v161, v82, 0xc0c0500
	v_or3_b32 v8, v8, v84, v71
	v_or3_b32 v9, v9, v83, v80
	;; [unrolled: 1-line block ×3, first 2 shown]
	s_mov_b64 s[14:15], 0
	v_or3_b32 v11, v11, v150, v82
	s_mov_b32 s16, -1
.LBB4_658:                              ;   Parent Loop BB4_51 Depth=1
                                        ;     Parent Loop BB4_558 Depth=2
                                        ;       Parent Loop BB4_657 Depth=3
                                        ; =>      This Inner Loop Header: Depth=4
	s_cmp_eq_u32 s14, 0
	v_cndmask_b32_e64 v71, 0, 1, s16
	s_cselect_b32 vcc_lo, -1, 0
	s_cmp_eq_u32 s14, 1
	s_mov_b32 s16, 0
	s_cselect_b32 s14, -1, 0
	s_delay_alu instid0(SALU_CYCLE_1) | instskip(SKIP_1) | instid1(VALU_DEP_2)
	v_cndmask_b32_e64 v80, v12, v14, s14
	v_cndmask_b32_e64 v81, v13, v15, s14
	v_add_co_u32 v82, s15, 0x200, v80
	s_delay_alu instid0(VALU_DEP_1) | instskip(SKIP_1) | instid1(VALU_DEP_3)
	v_add_co_ci_u32_e64 v83, s15, 0, v81, s15
	v_cmp_ne_u32_e64 s15, 1, v71
	v_cndmask_b32_e64 v14, v14, v82, s14
	v_cndmask_b32_e32 v12, v12, v82, vcc_lo
	s_delay_alu instid0(VALU_DEP_4)
	v_cndmask_b32_e64 v15, v15, v83, s14
	v_cndmask_b32_e32 v13, v13, v83, vcc_lo
	s_and_b32 vcc_lo, exec_lo, s15
	s_mov_b64 s[14:15], 1
	global_store_b128 v[80:81], v[8:11], off glc slc dlc
	s_cbranch_vccz .LBB4_658
; %bb.659:                              ;   in Loop: Header=BB4_657 Depth=3
	v_add_co_u32 v16, vcc_lo, v16, v117
	v_add_co_ci_u32_e32 v17, vcc_lo, v17, v118, vcc_lo
	v_add_co_u32 v18, vcc_lo, v18, v117
	v_sub_nc_u32_e32 v70, v70, v101
	v_add_co_ci_u32_e32 v19, vcc_lo, v19, v118, vcc_lo
	v_add_co_u32 v12, vcc_lo, v12, v103
	v_add_co_ci_u32_e32 v13, vcc_lo, v13, v115, vcc_lo
	s_delay_alu instid0(VALU_DEP_4) | instskip(SKIP_1) | instid1(VALU_DEP_1)
	v_cmp_gt_i32_e32 vcc_lo, 16, v70
	v_add_co_u32 v14, s14, v14, v103
	v_add_co_ci_u32_e64 v15, s14, v15, v115, s14
	v_sub_nc_u32_e32 v23, v23, v97
	s_or_b32 s31, vcc_lo, s31
	s_delay_alu instid0(SALU_CYCLE_1)
	s_and_not1_b32 exec_lo, exec_lo, s31
	s_cbranch_execnz .LBB4_657
; %bb.660:                              ;   in Loop: Header=BB4_558 Depth=2
	s_or_b32 exec_lo, exec_lo, s31
.LBB4_661:                              ;   in Loop: Header=BB4_558 Depth=2
	s_delay_alu instid0(SALU_CYCLE_1) | instskip(SKIP_3) | instid1(VALU_DEP_1)
	s_or_b32 exec_lo, exec_lo, s30
	v_and_b32_e32 v9, 15, v149
	s_mov_b32 s14, s49
	s_mov_b32 s15, exec_lo
                                        ; implicit-def: $vgpr16
                                        ; implicit-def: $vgpr18
                                        ; implicit-def: $vgpr8
	v_cndmask_b32_e64 v17, v22, v9, s13
	s_delay_alu instid0(VALU_DEP_1)
	v_cmpx_ne_u32_e32 0, v17
	s_cbranch_execz .LBB4_663
; %bb.662:                              ;   in Loop: Header=BB4_558 Depth=2
	v_cmp_lt_i32_e32 vcc_lo, 0, v23
	v_sub_nc_u32_e32 v9, v22, v9
	s_or_b32 s14, s49, exec_lo
	v_cndmask_b32_e32 v8, 0, v97, vcc_lo
	s_delay_alu instid0(VALU_DEP_2) | instskip(NEXT) | instid1(VALU_DEP_2)
	v_cndmask_b32_e64 v9, 0, v9, s13
	v_sub_nc_u32_e32 v8, v8, v23
	s_delay_alu instid0(VALU_DEP_2) | instskip(NEXT) | instid1(VALU_DEP_2)
	v_add3_u32 v16, v2, v20, v9
	v_lshl_add_u32 v18, v8, 5, v21
	s_delay_alu instid0(VALU_DEP_1) | instskip(NEXT) | instid1(VALU_DEP_1)
	v_ashrrev_i32_e32 v8, 31, v18
	v_lshrrev_b32_e32 v8, 27, v8
	s_delay_alu instid0(VALU_DEP_1) | instskip(NEXT) | instid1(VALU_DEP_1)
	v_add_nc_u32_e32 v8, v18, v8
	v_ashrrev_i32_e32 v8, 5, v8
.LBB4_663:                              ;   in Loop: Header=BB4_558 Depth=2
	s_or_b32 exec_lo, exec_lo, s15
	s_delay_alu instid0(SALU_CYCLE_1) | instskip(SKIP_1) | instid1(SALU_CYCLE_1)
	s_and_not1_b32 s13, s49, exec_lo
	s_and_b32 s14, s14, exec_lo
	s_or_b32 s49, s13, s14
.LBB4_664:                              ;   in Loop: Header=BB4_558 Depth=2
	s_or_b32 exec_lo, exec_lo, vcc_hi
	s_branch .LBB4_666
.LBB4_665:                              ;   in Loop: Header=BB4_558 Depth=2
	v_dual_mov_b32 v16, s14 :: v_dual_mov_b32 v17, v149
	v_mov_b32_e32 v18, v0
	v_mov_b32_e32 v8, v99
.LBB4_666:                              ;   in Loop: Header=BB4_558 Depth=2
	s_and_saveexec_b32 vcc_hi, s49
	s_cbranch_execz .LBB4_680
; %bb.667:                              ;   in Loop: Header=BB4_558 Depth=2
	v_ashrrev_i32_e32 v2, 31, v17
	s_mov_b32 s30, exec_lo
	s_delay_alu instid0(VALU_DEP_1) | instskip(NEXT) | instid1(VALU_DEP_1)
	v_lshrrev_b32_e32 v2, 23, v2
	v_add_nc_u32_e32 v2, v17, v2
	s_delay_alu instid0(VALU_DEP_1) | instskip(NEXT) | instid1(VALU_DEP_1)
	v_ashrrev_i32_e32 v19, 9, v2
	v_sub_nc_u32_e32 v2, v19, v8
	s_delay_alu instid0(VALU_DEP_1)
	v_cmpx_lt_i32_e32 0, v2
	s_cbranch_execz .LBB4_672
; %bb.668:                              ;   in Loop: Header=BB4_558 Depth=2
	v_cvt_f32_u32_e32 v9, s47
	s_sub_i32 s14, 0, s47
	s_mov_b32 s31, 0
	s_delay_alu instid0(VALU_DEP_1) | instskip(SKIP_2) | instid1(VALU_DEP_1)
	v_rcp_iflag_f32_e32 v9, v9
	s_waitcnt_depctr 0xfff
	v_mul_f32_e32 v9, 0x4f7ffffe, v9
	v_cvt_u32_f32_e32 v9, v9
	s_delay_alu instid0(VALU_DEP_1) | instskip(NEXT) | instid1(VALU_DEP_1)
	v_readfirstlane_b32 s13, v9
	s_mul_i32 s14, s14, s13
	s_delay_alu instid0(SALU_CYCLE_1) | instskip(NEXT) | instid1(SALU_CYCLE_1)
	s_mul_hi_u32 s14, s13, s14
	s_add_i32 s13, s13, s14
	s_delay_alu instid0(SALU_CYCLE_1) | instskip(NEXT) | instid1(SALU_CYCLE_1)
	s_mul_hi_u32 s13, s13, -1
	s_mul_i32 s14, s13, s47
	s_add_i32 s15, s13, 1
	s_not_b32 s14, s14
	s_delay_alu instid0(SALU_CYCLE_1)
	s_sub_i32 s16, s14, s47
	s_cmp_ge_u32 s14, s47
	s_cselect_b32 s13, s15, s13
	s_cselect_b32 s14, s16, s14
	s_add_i32 s15, s13, 1
	s_cmp_ge_u32 s14, s47
	s_cselect_b32 s34, s15, s13
	s_cbranch_execnz .LBB4_1760
; %bb.669:                              ;   in Loop: Header=BB4_558 Depth=2
	v_ashrrev_i32_e32 v9, 31, v18
	v_lshlrev_b32_e32 v8, 9, v8
	s_cmp_lt_i32 s48, 0
	s_cselect_b32 s35, -1, 0
	s_delay_alu instid0(VALU_DEP_2) | instskip(NEXT) | instid1(VALU_DEP_1)
	v_lshrrev_b32_e32 v9, 27, v9
	v_add_nc_u32_e32 v13, v18, v9
	ds_load_b128 v[9:12], v0
	v_and_b32_e32 v13, 0xffffffe0, v13
	s_delay_alu instid0(VALU_DEP_1) | instskip(NEXT) | instid1(VALU_DEP_1)
	v_sub_nc_u32_e32 v13, v18, v13
	v_add3_u32 v13, v16, v13, v8
	s_delay_alu instid0(VALU_DEP_1) | instskip(SKIP_2) | instid1(VALU_DEP_2)
	v_ashrrev_i32_e32 v14, 31, v13
	s_waitcnt lgkmcnt(0)
	v_add_co_u32 v8, vcc_lo, v9, v13
	v_add_co_ci_u32_e32 v9, vcc_lo, v10, v14, vcc_lo
	v_add_co_u32 v10, vcc_lo, v11, v13
	v_add_co_ci_u32_e32 v11, vcc_lo, v12, v14, vcc_lo
	s_delay_alu instid0(VALU_DEP_3) | instskip(NEXT) | instid1(VALU_DEP_2)
	v_dual_mov_b32 v13, v9 :: v_dual_mov_b32 v12, v8
	v_dual_mov_b32 v15, v11 :: v_dual_mov_b32 v14, v10
.LBB4_670:                              ;   Parent Loop BB4_51 Depth=1
                                        ;     Parent Loop BB4_558 Depth=2
                                        ; =>    This Inner Loop Header: Depth=3
	s_clause 0xf
	flat_load_u8 v20, v[8:9] slc dlc
	flat_load_u8 v21, v[8:9] offset:32 slc dlc
	flat_load_u8 v22, v[8:9] offset:64 slc dlc
	;; [unrolled: 1-line block ×15, first 2 shown]
	s_clause 0xf
	flat_load_u8 v162, v[10:11] slc dlc
	flat_load_u8 v163, v[10:11] offset:32 slc dlc
	flat_load_u8 v164, v[10:11] offset:64 slc dlc
	;; [unrolled: 1-line block ×15, first 2 shown]
	v_add_co_u32 v8, vcc_lo, v8, v117
	v_sub_nc_u32_e32 v2, v2, v97
	v_add_co_ci_u32_e32 v9, vcc_lo, v9, v118, vcc_lo
	v_add_co_u32 v10, vcc_lo, v10, v117
	v_add_co_ci_u32_e32 v11, vcc_lo, v11, v118, vcc_lo
	s_delay_alu instid0(VALU_DEP_4)
	v_cmp_gt_i32_e32 vcc_lo, 1, v2
	s_waitcnt vmcnt(15) lgkmcnt(15)
	v_add_nc_u16 v20, v162, v20
	s_waitcnt vmcnt(14) lgkmcnt(14)
	v_add_nc_u16 v21, v163, v21
	s_waitcnt vmcnt(13) lgkmcnt(13)
	v_add_nc_u16 v22, v164, v22
	s_waitcnt vmcnt(12) lgkmcnt(12)
	v_add_nc_u16 v23, v165, v23
	s_waitcnt vmcnt(11) lgkmcnt(11)
	v_add_nc_u16 v70, v166, v70
	v_bfe_i32 v162, v20, 0, 8
	v_bfe_i32 v163, v21, 0, 8
	v_sub_nc_u16 v42, 0, v20
	v_bfe_i32 v164, v22, 0, 8
	v_sub_nc_u16 v43, 0, v21
	v_cmp_gt_i16_e64 s13, 0, v162
	v_cmp_gt_i16_e64 s14, 0, v163
	v_bfe_i32 v165, v23, 0, 8
	v_cmp_gt_i16_e64 s15, 0, v164
	v_sub_nc_u16 v44, 0, v22
	s_and_b32 s13, s35, s13
	s_and_b32 s14, s35, s14
	v_cndmask_b32_e64 v20, v20, v42, s13
	v_cndmask_b32_e64 v21, v21, v43, s14
	s_and_b32 s15, s35, s15
	v_cmp_gt_i16_e64 s16, 0, v165
	v_bfe_i32 v166, v70, 0, 8
	v_and_b32_e32 v20, 0xff, v20
	v_and_b32_e32 v21, 0xff, v21
	v_cndmask_b32_e64 v22, v22, v44, s15
	s_waitcnt vmcnt(10) lgkmcnt(10)
	v_add_nc_u16 v71, v167, v71
	v_sub_nc_u16 v45, 0, v23
	v_mul_hi_u32 v162, v20, s34
	s_and_b32 s16, s35, s16
	v_mul_hi_u32 v163, v21, s34
	v_cmp_gt_i16_e64 s17, 0, v166
	v_and_b32_e32 v22, 0xff, v22
	v_bfe_i32 v167, v71, 0, 8
	v_cndmask_b32_e64 v23, v23, v45, s16
	s_waitcnt vmcnt(9) lgkmcnt(9)
	v_add_nc_u16 v80, v176, v80
	v_mul_lo_u32 v42, s47, v162
	v_sub_nc_u16 v46, 0, v70
	s_and_b32 s17, s35, s17
	v_mul_hi_u32 v164, v22, s34
	v_cmp_gt_i16_e64 s18, 0, v167
	v_and_b32_e32 v23, 0xff, v23
	v_bfe_i32 v176, v80, 0, 8
	v_cndmask_b32_e64 v70, v70, v46, s17
	v_mul_lo_u32 v43, s47, v163
	s_waitcnt vmcnt(8) lgkmcnt(8)
	v_add_nc_u16 v81, v177, v81
	v_sub_nc_u16 v47, 0, v71
	v_sub_nc_u32_e32 v20, v20, v42
	s_and_b32 s18, s35, s18
	v_mul_hi_u32 v165, v23, s34
	v_cmp_gt_i16_e64 s19, 0, v176
	v_and_b32_e32 v70, 0xff, v70
	v_bfe_i32 v177, v81, 0, 8
	v_cndmask_b32_e64 v71, v71, v47, s18
	v_mul_lo_u32 v44, s47, v164
	s_waitcnt vmcnt(7) lgkmcnt(7)
	v_add_nc_u16 v82, v178, v82
	v_sub_nc_u16 v56, 0, v80
	v_cmp_le_u32_e64 s29, s47, v20
	v_sub_nc_u32_e32 v21, v21, v43
	s_and_b32 s19, s35, s19
	v_mul_hi_u32 v166, v70, s34
	v_cmp_gt_i16_e64 s20, 0, v177
	v_and_b32_e32 v71, 0xff, v71
	v_bfe_i32 v178, v82, 0, 8
	v_cndmask_b32_e64 v80, v80, v56, s19
	v_mul_lo_u32 v45, s47, v165
	v_add_co_ci_u32_e64 v20, s29, 0, v162, s29
	s_waitcnt vmcnt(6) lgkmcnt(6)
	v_add_nc_u16 v83, v179, v83
	v_sub_nc_u16 v57, 0, v81
	v_cmp_le_u32_e64 s29, s47, v21
	v_sub_nc_u32_e32 v22, v22, v44
	s_and_b32 s20, s35, s20
	v_mul_hi_u32 v167, v71, s34
	v_cmp_gt_i16_e64 s21, 0, v178
	v_and_b32_e32 v80, 0xff, v80
	v_bfe_i32 v179, v83, 0, 8
	v_cndmask_b32_e64 v81, v81, v57, s20
	v_mul_lo_u32 v46, s47, v166
	v_add_co_ci_u32_e64 v21, s29, 0, v163, s29
	;; [unrolled: 13-line block ×8, first 2 shown]
	v_sub_nc_u16 v72, 0, v160
	v_cmp_le_u32_e64 s29, s47, v82
	v_sub_nc_u32_e32 v83, v83, v59
	s_and_b32 s27, s35, s27
	v_mul_hi_u32 v182, v150, s34
	v_cmp_gt_i16_e64 s28, 0, v41
	v_and_b32_e32 v151, 0xff, v151
	v_cndmask_b32_e64 v160, v160, v72, s27
	v_mul_lo_u32 v61, s47, v181
	v_add_co_ci_u32_e64 v82, s29, 0, v178, s29
	v_sub_nc_u16 v73, 0, v161
	v_cmp_le_u32_e64 s29, s47, v83
	v_sub_nc_u32_e32 v84, v84, v60
	s_and_b32 s28, s35, s28
	v_mul_hi_u32 v183, v151, s34
	v_and_b32_e32 v160, 0xff, v160
	v_cndmask_b32_e64 v161, v161, v73, s28
	v_mul_lo_u32 v62, s47, v182
	v_add_co_ci_u32_e64 v83, s29, 0, v179, s29
	v_cmp_le_u32_e64 s29, s47, v84
	v_sub_nc_u32_e32 v85, v85, v61
	v_mul_hi_u32 v40, v160, s34
	v_and_b32_e32 v161, 0xff, v161
	v_mul_lo_u32 v63, s47, v183
	v_add_co_ci_u32_e64 v84, s29, 0, v180, s29
	v_cmp_le_u32_e64 s29, s47, v85
	v_sub_nc_u32_e32 v150, v150, v62
	v_mul_hi_u32 v41, v161, s34
	v_mul_lo_u32 v72, s47, v40
	v_sub_nc_u32_e32 v162, 0, v20
	v_add_co_ci_u32_e64 v85, s29, 0, v181, s29
	v_cmp_le_u32_e64 s29, s47, v150
	v_sub_nc_u32_e32 v151, v151, v63
	v_sub_nc_u32_e32 v163, 0, v21
	v_mul_lo_u32 v73, s47, v41
	v_sub_nc_u32_e32 v160, v160, v72
	v_add_co_ci_u32_e64 v150, s29, 0, v182, s29
	v_cmp_le_u32_e64 s29, s47, v151
	v_sub_nc_u32_e32 v164, 0, v22
	v_sub_nc_u32_e32 v165, 0, v23
	v_sub_nc_u32_e32 v166, 0, v70
	v_sub_nc_u32_e32 v161, v161, v73
	v_add_co_ci_u32_e64 v151, s29, 0, v183, s29
	v_cmp_le_u32_e64 s29, s47, v160
	v_sub_nc_u32_e32 v167, 0, v71
	v_sub_nc_u32_e32 v176, 0, v80
	v_sub_nc_u32_e32 v177, 0, v81
	;; [unrolled: 6-line block ×3, first 2 shown]
	v_sub_nc_u32_e32 v182, 0, v150
	v_add_co_ci_u32_e64 v161, s29, 0, v41, s29
	v_sub_nc_u32_e32 v183, 0, v151
	v_sub_nc_u32_e32 v40, 0, v160
	v_cndmask_b32_e64 v20, v20, v162, s13
	s_delay_alu instid0(VALU_DEP_4)
	v_sub_nc_u32_e32 v41, 0, v161
	v_cndmask_b32_e64 v21, v21, v163, s14
	v_cndmask_b32_e64 v22, v22, v164, s15
	;; [unrolled: 1-line block ×15, first 2 shown]
	s_clause 0xf
	flat_store_b8 v[12:13], v20 glc slc dlc
	flat_store_b8 v[12:13], v21 offset:32 glc slc dlc
	flat_store_b8 v[12:13], v22 offset:64 glc slc dlc
	;; [unrolled: 1-line block ×15, first 2 shown]
	s_clause 0xf
	flat_store_b8 v[14:15], v20 glc slc dlc
	flat_store_b8 v[14:15], v21 offset:32 glc slc dlc
	flat_store_b8 v[14:15], v22 offset:64 glc slc dlc
	flat_store_b8 v[14:15], v23 offset:96 glc slc dlc
	flat_store_b8 v[14:15], v70 offset:128 glc slc dlc
	flat_store_b8 v[14:15], v71 offset:160 glc slc dlc
	flat_store_b8 v[14:15], v80 offset:192 glc slc dlc
	flat_store_b8 v[14:15], v81 offset:224 glc slc dlc
	flat_store_b8 v[14:15], v82 offset:256 glc slc dlc
	flat_store_b8 v[14:15], v83 offset:288 glc slc dlc
	flat_store_b8 v[14:15], v84 offset:320 glc slc dlc
	flat_store_b8 v[14:15], v85 offset:352 glc slc dlc
	flat_store_b8 v[14:15], v150 offset:384 glc slc dlc
	flat_store_b8 v[14:15], v151 offset:416 glc slc dlc
	flat_store_b8 v[14:15], v160 offset:448 glc slc dlc
	flat_store_b8 v[14:15], v161 offset:480 glc slc dlc
	v_add_co_u32 v12, s13, v12, v117
	s_delay_alu instid0(VALU_DEP_1) | instskip(SKIP_1) | instid1(VALU_DEP_1)
	v_add_co_ci_u32_e64 v13, s13, v13, v118, s13
	v_add_co_u32 v14, s13, v14, v117
	v_add_co_ci_u32_e64 v15, s13, v15, v118, s13
	s_or_b32 s31, vcc_lo, s31
	s_delay_alu instid0(SALU_CYCLE_1)
	s_and_not1_b32 exec_lo, exec_lo, s31
	s_cbranch_execnz .LBB4_670
; %bb.671:                              ;   in Loop: Header=BB4_558 Depth=2
	s_or_b32 exec_lo, exec_lo, s31
.LBB4_672:                              ;   in Loop: Header=BB4_558 Depth=2
	s_delay_alu instid0(SALU_CYCLE_1) | instskip(SKIP_2) | instid1(VALU_DEP_1)
	s_or_b32 exec_lo, exec_lo, s30
	v_lshlrev_b32_e32 v8, 9, v19
	s_mov_b32 s15, exec_lo
	v_cmpx_ne_u32_e64 v17, v8
	s_cbranch_execz .LBB4_679
; %bb.673:                              ;   in Loop: Header=BB4_558 Depth=2
	v_ashrrev_i32_e32 v9, 31, v18
	v_lshlrev_b32_e32 v2, 5, v2
	s_delay_alu instid0(VALU_DEP_2) | instskip(NEXT) | instid1(VALU_DEP_1)
	v_lshrrev_b32_e32 v9, 27, v9
	v_add_nc_u32_e32 v9, v18, v9
	s_delay_alu instid0(VALU_DEP_1) | instskip(NEXT) | instid1(VALU_DEP_1)
	v_and_b32_e32 v9, 0xffffffe0, v9
	v_sub_nc_u32_e32 v9, v18, v9
	s_delay_alu instid0(VALU_DEP_1) | instskip(NEXT) | instid1(VALU_DEP_1)
	v_sub_nc_u32_e32 v2, v9, v2
	v_add_nc_u32_e32 v8, v8, v2
	s_delay_alu instid0(VALU_DEP_1) | instskip(NEXT) | instid1(VALU_DEP_1)
	v_sub_nc_u32_e32 v2, v17, v8
	v_cmp_lt_i32_e32 vcc_lo, 0, v2
	s_and_b32 exec_lo, exec_lo, vcc_lo
	s_cbranch_execz .LBB4_679
; %bb.674:                              ;   in Loop: Header=BB4_558 Depth=2
	v_cvt_f32_u32_e32 v9, s47
	s_sub_i32 s14, 0, s47
	s_mov_b32 s18, 0
	s_delay_alu instid0(VALU_DEP_1) | instskip(SKIP_2) | instid1(VALU_DEP_1)
	v_rcp_iflag_f32_e32 v9, v9
	s_waitcnt_depctr 0xfff
	v_mul_f32_e32 v9, 0x4f7ffffe, v9
	v_cvt_u32_f32_e32 v9, v9
	s_delay_alu instid0(VALU_DEP_1) | instskip(NEXT) | instid1(VALU_DEP_1)
	v_readfirstlane_b32 s13, v9
	s_mul_i32 s14, s14, s13
	s_delay_alu instid0(SALU_CYCLE_1) | instskip(NEXT) | instid1(SALU_CYCLE_1)
	s_mul_hi_u32 s14, s13, s14
	s_add_i32 s13, s13, s14
	s_delay_alu instid0(SALU_CYCLE_1) | instskip(NEXT) | instid1(SALU_CYCLE_1)
	s_mul_hi_u32 s13, s13, -1
	s_mul_i32 s14, s13, s47
	s_add_i32 s16, s13, 1
	s_not_b32 s14, s14
	s_delay_alu instid0(SALU_CYCLE_1)
	s_sub_i32 s17, s14, s47
	s_cmp_ge_u32 s14, s47
	s_cselect_b32 s13, s16, s13
	s_cselect_b32 s14, s17, s14
	s_add_i32 s16, s13, 1
	s_cmp_ge_u32 s14, s47
	s_cselect_b32 s19, s16, s13
	s_cbranch_execnz .LBB4_1822
; %bb.675:                              ;   in Loop: Header=BB4_558 Depth=2
	ds_load_b128 v[9:12], v0
	v_add_nc_u32_e32 v13, v8, v16
	s_cmp_lt_i32 s48, 0
	s_cselect_b32 s20, -1, 0
	s_delay_alu instid0(VALU_DEP_1) | instskip(SKIP_2) | instid1(VALU_DEP_2)
	v_ashrrev_i32_e32 v14, 31, v13
	s_waitcnt lgkmcnt(0)
	v_add_co_u32 v8, vcc_lo, v9, v13
	v_add_co_ci_u32_e32 v9, vcc_lo, v10, v14, vcc_lo
	v_add_co_u32 v10, vcc_lo, v11, v13
	v_add_co_ci_u32_e32 v11, vcc_lo, v12, v14, vcc_lo
	s_delay_alu instid0(VALU_DEP_3) | instskip(NEXT) | instid1(VALU_DEP_2)
	v_dual_mov_b32 v13, v9 :: v_dual_mov_b32 v12, v8
	v_dual_mov_b32 v15, v11 :: v_dual_mov_b32 v14, v10
.LBB4_676:                              ;   Parent Loop BB4_51 Depth=1
                                        ;     Parent Loop BB4_558 Depth=2
                                        ; =>    This Loop Header: Depth=3
                                        ;         Child Loop BB4_677 Depth 4
	flat_load_u8 v16, v[12:13] slc dlc
	flat_load_u8 v17, v[14:15] slc dlc
	s_mov_b64 s[16:17], 0
	s_mov_b32 s21, -1
	s_waitcnt vmcnt(0) lgkmcnt(0)
	v_add_nc_u16 v16, v17, v16
	s_delay_alu instid0(VALU_DEP_1) | instskip(NEXT) | instid1(VALU_DEP_1)
	v_bfe_i32 v17, v16, 0, 8
	v_cmp_gt_i16_e32 vcc_lo, 0, v17
	v_sub_nc_u16 v17, 0, v16
	s_and_b32 vcc_lo, s20, vcc_lo
	s_delay_alu instid0(VALU_DEP_1) | instskip(NEXT) | instid1(VALU_DEP_1)
	v_cndmask_b32_e32 v16, v16, v17, vcc_lo
	v_and_b32_e32 v16, 0xff, v16
	s_delay_alu instid0(VALU_DEP_1) | instskip(NEXT) | instid1(VALU_DEP_1)
	v_mul_hi_u32 v17, v16, s19
	v_mul_lo_u32 v18, s47, v17
	s_delay_alu instid0(VALU_DEP_1) | instskip(NEXT) | instid1(VALU_DEP_1)
	v_sub_nc_u32_e32 v16, v16, v18
	v_cmp_le_u32_e64 s13, s47, v16
	s_delay_alu instid0(VALU_DEP_1) | instskip(NEXT) | instid1(VALU_DEP_1)
	v_add_co_ci_u32_e64 v16, s13, 0, v17, s13
	v_sub_nc_u32_e32 v17, 0, v16
	s_delay_alu instid0(VALU_DEP_1)
	v_cndmask_b32_e32 v16, v16, v17, vcc_lo
.LBB4_677:                              ;   Parent Loop BB4_51 Depth=1
                                        ;     Parent Loop BB4_558 Depth=2
                                        ;       Parent Loop BB4_676 Depth=3
                                        ; =>      This Inner Loop Header: Depth=4
	s_cmp_eq_u32 s16, 1
	s_cselect_b32 vcc_lo, -1, 0
	s_cmp_eq_u32 s16, 0
	v_dual_cndmask_b32 v18, v9, v11 :: v_dual_cndmask_b32 v17, v8, v10
	s_mov_b64 s[16:17], 1
	s_delay_alu instid0(VALU_DEP_1) | instskip(NEXT) | instid1(VALU_DEP_1)
	v_add_co_u32 v19, s13, v17, 32
	v_add_co_ci_u32_e64 v20, s13, 0, v18, s13
	s_cselect_b32 s13, -1, 0
	s_and_b32 s14, exec_lo, s21
	s_delay_alu instid0(VALU_DEP_1)
	v_dual_cndmask_b32 v10, v10, v19 :: v_dual_cndmask_b32 v11, v11, v20
	v_cndmask_b32_e64 v9, v9, v20, s13
	v_cndmask_b32_e64 v8, v8, v19, s13
	s_mov_b32 s21, 0
	s_mov_b32 vcc_lo, s14
	flat_store_b8 v[17:18], v16 glc slc dlc
	s_cbranch_vccnz .LBB4_677
; %bb.678:                              ;   in Loop: Header=BB4_676 Depth=3
	v_add_co_u32 v12, vcc_lo, v12, v128
	v_add_co_ci_u32_e32 v13, vcc_lo, v13, v129, vcc_lo
	v_add_co_u32 v14, vcc_lo, v14, v128
	v_sub_nc_u32_e32 v2, v2, v98
	v_add_co_ci_u32_e32 v15, vcc_lo, v15, v129, vcc_lo
	v_add_co_u32 v8, vcc_lo, v8, v116
	v_add_co_ci_u32_e32 v9, vcc_lo, v9, v119, vcc_lo
	s_delay_alu instid0(VALU_DEP_4) | instskip(SKIP_1) | instid1(VALU_DEP_1)
	v_cmp_gt_i32_e32 vcc_lo, 1, v2
	v_add_co_u32 v10, s13, v10, v116
	v_add_co_ci_u32_e64 v11, s13, v11, v119, s13
	s_or_b32 s18, vcc_lo, s18
	s_delay_alu instid0(SALU_CYCLE_1)
	s_and_not1_b32 exec_lo, exec_lo, s18
	s_cbranch_execnz .LBB4_676
.LBB4_679:                              ;   in Loop: Header=BB4_558 Depth=2
	s_or_b32 exec_lo, exec_lo, s15
.LBB4_680:                              ;   in Loop: Header=BB4_558 Depth=2
	s_delay_alu instid0(SALU_CYCLE_1)
	s_or_b32 exec_lo, exec_lo, vcc_hi
	s_mov_b32 s13, 0
.LBB4_681:                              ;   in Loop: Header=BB4_558 Depth=2
	s_delay_alu instid0(SALU_CYCLE_1)
	s_and_b32 vcc_lo, exec_lo, s13
	s_cbranch_vccz .LBB4_719
; %bb.682:                              ;   in Loop: Header=BB4_558 Depth=2
	s_mov_b32 s13, -1
	s_and_saveexec_b32 s14, s12
	s_cbranch_execz .LBB4_684
; %bb.683:                              ;   in Loop: Header=BB4_558 Depth=2
	ds_load_b32 v2, v0 offset:720
	s_waitcnt lgkmcnt(0)
	v_and_b32_e32 v2, 15, v2
	s_delay_alu instid0(VALU_DEP_1)
	v_cmp_eq_u32_e32 vcc_lo, 0, v2
	s_or_not1_b32 s13, vcc_lo, exec_lo
.LBB4_684:                              ;   in Loop: Header=BB4_558 Depth=2
	s_or_b32 exec_lo, exec_lo, s14
	s_and_saveexec_b32 s14, s5
	s_cbranch_execz .LBB4_686
; %bb.685:                              ;   in Loop: Header=BB4_558 Depth=2
	ds_load_b32 v2, v0 offset:784
	s_waitcnt lgkmcnt(0)
	v_and_b32_e32 v2, 15, v2
	s_delay_alu instid0(VALU_DEP_1) | instskip(SKIP_3) | instid1(SALU_CYCLE_1)
	v_cmp_eq_u32_e32 vcc_lo, 0, v2
	s_and_b32 s15, s13, vcc_lo
	s_and_not1_b32 s13, s13, exec_lo
	s_and_b32 s15, s15, exec_lo
	s_or_b32 s13, s13, s15
.LBB4_686:                              ;   in Loop: Header=BB4_558 Depth=2
	s_or_b32 exec_lo, exec_lo, s14
	s_xor_b32 s13, s13, -1
	v_alignbit_b32 v8, v69, v69, 1
	v_cndmask_b32_e64 v2, 0, 1, s13
	;;#ASMSTART
	;;#ASMEND
	s_delay_alu instid0(VALU_DEP_1)
	v_cmp_ne_u32_e32 vcc_lo, 0, v2
	s_mov_b32 s13, -1
	s_cbranch_vccz .LBB4_688
; %bb.687:                              ;   in Loop: Header=BB4_558 Depth=2
	v_readfirstlane_b32 s14, v8
	v_readfirstlane_b32 s48, v8
	s_mov_b32 s13, 0
	s_mov_b32 s49, -1
	s_delay_alu instid0(VALU_DEP_2)
	s_and_b32 s47, s14, 0x7fffffff
	s_mov_b32 s14, 0
	s_branch .LBB4_689
.LBB4_688:                              ;   in Loop: Header=BB4_558 Depth=2
	s_mov_b32 s49, 0
                                        ; implicit-def: $sgpr14
                                        ; implicit-def: $sgpr48
                                        ; implicit-def: $sgpr47
.LBB4_689:                              ;   in Loop: Header=BB4_558 Depth=2
	s_and_not1_b32 vcc_lo, exec_lo, s13
	s_cbranch_vccnz .LBB4_705
; %bb.690:                              ;   in Loop: Header=BB4_558 Depth=2
	v_ashrrev_i32_e32 v2, 31, v149
	v_readfirstlane_b32 s13, v8
	v_readfirstlane_b32 s48, v8
	s_mov_b32 s50, exec_lo
	s_delay_alu instid0(VALU_DEP_3) | instskip(NEXT) | instid1(VALU_DEP_3)
	v_lshrrev_b32_e32 v2, 22, v2
	s_and_b32 s47, s13, 0x7fffffff
	s_delay_alu instid0(VALU_DEP_1) | instskip(NEXT) | instid1(VALU_DEP_1)
	v_add_nc_u32_e32 v2, v149, v2
	v_ashrrev_i32_e32 v71, 10, v2
	s_delay_alu instid0(VALU_DEP_1) | instskip(NEXT) | instid1(VALU_DEP_1)
	v_sub_nc_u32_e32 v2, v71, v99
	v_cmpx_lt_i32_e32 0, v2
	s_cbranch_execz .LBB4_695
; %bb.691:                              ;   in Loop: Header=BB4_558 Depth=2
	v_cvt_f32_u32_e32 v8, s47
	s_sub_i32 s14, 0, s47
	s_mov_b32 s51, 0
	s_delay_alu instid0(VALU_DEP_1) | instskip(SKIP_2) | instid1(VALU_DEP_1)
	v_rcp_iflag_f32_e32 v8, v8
	s_waitcnt_depctr 0xfff
	v_mul_f32_e32 v8, 0x4f7ffffe, v8
	v_cvt_u32_f32_e32 v8, v8
	s_delay_alu instid0(VALU_DEP_1) | instskip(NEXT) | instid1(VALU_DEP_1)
	v_readfirstlane_b32 s13, v8
	s_mul_i32 s14, s14, s13
	s_delay_alu instid0(SALU_CYCLE_1) | instskip(NEXT) | instid1(SALU_CYCLE_1)
	s_mul_hi_u32 s14, s13, s14
	s_add_i32 s13, s13, s14
	s_delay_alu instid0(SALU_CYCLE_1) | instskip(NEXT) | instid1(SALU_CYCLE_1)
	s_mul_hi_u32 s13, s13, -1
	s_mul_i32 s14, s13, s47
	s_add_i32 s15, s13, 1
	s_not_b32 s14, s14
	s_delay_alu instid0(SALU_CYCLE_1)
	s_sub_i32 s16, s14, s47
	s_cmp_ge_u32 s14, s47
	s_cselect_b32 s13, s15, s13
	s_cselect_b32 s14, s16, s14
	s_add_i32 s15, s13, 1
	s_cmp_ge_u32 s14, s47
	s_cselect_b32 s52, s15, s13
	s_cbranch_execnz .LBB4_1768
; %bb.692:                              ;   in Loop: Header=BB4_558 Depth=2
	ds_load_b128 v[8:11], v0
	ds_load_b64 v[12:13], v0
	s_cmp_lt_i32 s48, 0
	s_cselect_b32 s53, -1, 0
	s_waitcnt lgkmcnt(1)
	v_add_co_u32 v69, vcc_lo, v8, v130
	v_add_co_ci_u32_e32 v70, vcc_lo, v9, v131, vcc_lo
	v_add_co_u32 v80, vcc_lo, v10, v130
	v_add_co_ci_u32_e32 v81, vcc_lo, v11, v131, vcc_lo
	s_waitcnt lgkmcnt(0)
	v_add_co_u32 v82, vcc_lo, v12, v130
	v_add_co_ci_u32_e32 v83, vcc_lo, v13, v131, vcc_lo
.LBB4_693:                              ;   Parent Loop BB4_51 Depth=1
                                        ;     Parent Loop BB4_558 Depth=2
                                        ; =>    This Inner Loop Header: Depth=3
	global_load_b128 v[16:19], v[69:70], off slc dlc
	global_load_b128 v[20:23], v[80:81], off slc dlc
	global_load_b128 v[8:11], v[69:70], off offset:512 slc dlc
	global_load_b128 v[12:15], v[80:81], off offset:512 slc dlc
	v_add_co_u32 v69, vcc_lo, v69, v132
	v_sub_nc_u32_e32 v2, v2, v97
	v_add_co_ci_u32_e32 v70, vcc_lo, v70, v133, vcc_lo
	v_add_co_u32 v80, vcc_lo, v80, v132
	v_add_co_ci_u32_e32 v81, vcc_lo, v81, v133, vcc_lo
	s_delay_alu instid0(VALU_DEP_4)
	v_cmp_gt_i32_e32 vcc_lo, 1, v2
	s_waitcnt vmcnt(3)
	v_and_b32_e32 v84, 0xff00ff, v16
	s_waitcnt vmcnt(2)
	v_and_b32_e32 v85, 0xff00ff, v20
	v_and_b32_e32 v16, 0xff00ff00, v16
	;; [unrolled: 1-line block ×15, first 2 shown]
	s_waitcnt vmcnt(1)
	v_and_b32_e32 v164, 0xff00ff, v8
	s_waitcnt vmcnt(0)
	v_and_b32_e32 v165, 0xff00ff, v12
	v_add_co_u32 v84, null, v85, v84
	v_and_b32_e32 v178, 0xff00ff, v11
	v_and_b32_e32 v179, 0xff00ff, v15
	v_and_b32_e32 v11, 0xff00ff00, v11
	v_and_b32_e32 v15, 0xff00ff00, v15
	v_add_nc_u32_e32 v16, v20, v16
	v_and_b32_e32 v166, 0xff00ff, v9
	v_and_b32_e32 v167, 0xff00ff, v13
	;; [unrolled: 1-line block ×6, first 2 shown]
	v_add_co_u32 v20, null, v151, v150
	v_add_nc_u32_e32 v17, v21, v17
	v_add_co_u32 v21, null, v161, v160
	v_add_nc_u32_e32 v18, v22, v18
	;; [unrolled: 2-line block ×3, first 2 shown]
	v_add_co_u32 v23, null, v165, v164
	v_bfe_i32 v164, v84, 0, 8
	v_and_b32_e32 v8, 0xff00ff00, v8
	v_and_b32_e32 v12, 0xff00ff00, v12
	v_add_nc_u32_e32 v11, v15, v11
	v_perm_b32 v15, v16, v84, 0x7020500
	v_add_nc_u32_e32 v9, v13, v9
	v_add_co_u32 v13, null, v177, v176
	v_bfe_i32 v176, v20, 0, 8
	v_bfe_i32 v180, v21, 0, 8
	;; [unrolled: 1-line block ×4, first 2 shown]
	v_cmp_gt_i16_e64 s13, 0, v164
	v_add_nc_u32_e32 v8, v12, v8
	v_add_co_u32 v12, null, v167, v166
	v_sub_nc_u16 v165, 0, v84
	v_lshrrev_b32_e32 v166, 8, v16
	v_lshrrev_b32_e32 v16, 24, v16
	v_and_b32_e32 v164, 0x8000, v15
	v_and_b32_e32 v15, s48, v15
	v_cmp_gt_i16_e64 s15, 0, v176
	v_cmp_gt_i16_e64 s17, 0, v180
	;; [unrolled: 1-line block ×4, first 2 shown]
	s_and_b32 s13, s53, s13
	v_and_b32_e32 v10, 0xff00ff00, v10
	v_and_b32_e32 v14, 0xff00ff00, v14
	v_perm_b32 v150, v18, v21, 0x7020500
	v_lshrrev_b32_e32 v167, 16, v84
	v_sub_nc_u16 v177, 0, v20
	v_sub_nc_u16 v181, 0, v21
	;; [unrolled: 1-line block ×5, first 2 shown]
	v_cndmask_b32_e64 v84, v84, v165, s13
	v_cmp_lt_i32_e64 s14, -1, v15
	v_perm_b32 v85, v17, v20, 0x7020500
	s_and_b32 s15, s53, s15
	s_and_b32 s17, s53, s17
	;; [unrolled: 1-line block ×4, first 2 shown]
	v_add_nc_u32_e32 v10, v14, v10
	v_add_co_u32 v14, null, v179, v178
	v_perm_b32 v151, v19, v22, 0x7020500
	v_perm_b32 v160, v8, v23, 0x7020500
	v_lshrrev_b32_e32 v179, 16, v20
	v_lshrrev_b32_e32 v183, 16, v21
	;; [unrolled: 1-line block ×4, first 2 shown]
	v_and_b32_e32 v180, 0x8000, v150
	v_cndmask_b32_e64 v15, v79, v16, s14
	v_cndmask_b32_e64 v16, v20, v177, s15
	;; [unrolled: 1-line block ×5, first 2 shown]
	v_and_b32_e32 v23, 0xff, v84
	v_lshrrev_b32_e32 v178, 8, v17
	v_lshrrev_b32_e32 v17, 24, v17
	;; [unrolled: 1-line block ×3, first 2 shown]
	v_and_b32_e32 v176, 0x8000, v85
	v_and_b32_e32 v85, s48, v85
	v_cmp_ne_u32_e64 s34, 0, v180
	v_mul_hi_u32 v180, v23, s52
	v_and_b32_e32 v15, 0xff, v15
	v_sub_nc_u16 v91, 0, v17
	v_sub_nc_u16 v92, 0, v182
	v_and_b32_e32 v44, 0x8000, v160
	v_and_b32_e32 v160, s48, v160
	v_cmp_lt_i32_e64 s16, -1, v85
	v_bfe_i32 v93, v183, 0, 8
	s_and_b32 s34, s53, s34
	v_mul_hi_u32 v181, v15, s52
	v_and_b32_e32 v16, 0xff, v16
	v_perm_b32 v161, v9, v12, 0x7020500
	v_bfe_i32 v56, v12, 0, 8
	v_cndmask_b32_e64 v17, v91, v17, s16
	v_cmp_lt_i32_e64 s22, -1, v160
	v_cndmask_b32_e64 v160, v182, v92, s34
	v_mul_lo_u32 v92, s47, v180
	v_lshrrev_b32_e32 v18, 24, v18
	v_and_b32_e32 v150, s48, v150
	v_cmp_gt_i16_e64 s35, 0, v93
	v_mul_hi_u32 v182, v16, s52
	v_sub_nc_u16 v94, 0, v183
	v_cmp_gt_i16_e64 s23, 0, v56
	v_and_b32_e32 v56, 0x8000, v161
	v_and_b32_e32 v161, s48, v161
	;; [unrolled: 1-line block ×3, first 2 shown]
	v_mul_lo_u32 v93, s47, v181
	v_sub_nc_u16 v95, 0, v18
	v_cmp_lt_i32_e64 s18, -1, v150
	s_and_b32 s35, s53, s35
	v_sub_nc_u32_e32 v23, v23, v92
	v_cmp_lt_i32_e64 s24, -1, v161
	v_cndmask_b32_e64 v161, v183, v94, s35
	v_mul_hi_u32 v183, v17, s52
	v_and_b32_e32 v40, 0x8000, v151
	v_and_b32_e32 v20, 0xff, v20
	v_cndmask_b32_e64 v18, v95, v18, s18
	v_mul_lo_u32 v94, s47, v182
	v_cmp_le_u32_e64 s46, s47, v23
	v_perm_b32 v162, v10, v13, 0x7020500
	v_lshrrev_b32_e32 v42, 8, v19
	v_lshrrev_b32_e32 v19, 24, v19
	v_bfe_i32 v60, v13, 0, 8
	v_and_b32_e32 v151, s48, v151
	v_sub_nc_u32_e32 v15, v15, v93
	v_cmp_ne_u32_e64 s36, 0, v40
	v_mul_hi_u32 v40, v20, s52
	v_and_b32_e32 v18, 0xff, v18
	v_mul_lo_u32 v95, s47, v183
	v_add_co_ci_u32_e64 v23, s46, 0, v180, s46
	v_sub_nc_u16 v104, 0, v42
	v_sub_nc_u16 v107, 0, v19
	v_cmp_gt_i16_e64 s25, 0, v60
	v_and_b32_e32 v60, 0x8000, v162
	v_and_b32_e32 v162, s48, v162
	v_cmp_lt_i32_e64 s20, -1, v151
	v_cmp_le_u32_e64 s46, s47, v15
	v_sub_nc_u32_e32 v16, v16, v94
	v_bfe_i32 v105, v43, 0, 8
	s_and_b32 s36, s53, s36
	v_mul_hi_u32 v41, v18, s52
	v_and_b32_e32 v21, 0xff, v21
	v_perm_b32 v163, v11, v14, 0x7020500
	v_bfe_i32 v72, v14, 0, 8
	v_cndmask_b32_e64 v19, v107, v19, s20
	v_cmp_lt_i32_e64 s26, -1, v162
	v_cndmask_b32_e64 v162, v42, v104, s36
	v_mul_lo_u32 v104, s47, v40
	v_add_co_ci_u32_e64 v15, s46, 0, v181, s46
	v_cmp_le_u32_e64 s46, s47, v16
	v_lshrrev_b32_e32 v46, 8, v8
	v_lshrrev_b32_e32 v8, 24, v8
	v_sub_nc_u32_e32 v17, v17, v95
	v_cmp_gt_i16_e64 s37, 0, v105
	v_mul_hi_u32 v42, v21, s52
	v_sub_nc_u16 v106, 0, v43
	v_cmp_gt_i16_e64 s27, 0, v72
	v_and_b32_e32 v72, 0x8000, v163
	v_and_b32_e32 v163, s48, v163
	;; [unrolled: 1-line block ×3, first 2 shown]
	v_mul_lo_u32 v105, s47, v41
	v_add_co_ci_u32_e64 v16, s46, 0, v182, s46
	v_sub_nc_u16 v111, 0, v8
	v_cmp_le_u32_e64 s46, s47, v17
	s_and_b32 s37, s53, s37
	v_sub_nc_u32_e32 v20, v20, v104
	v_cmp_lt_i32_e64 s28, -1, v163
	v_cndmask_b32_e64 v163, v43, v106, s37
	v_mul_hi_u32 v43, v19, s52
	v_and_b32_e32 v22, 0xff, v22
	v_cndmask_b32_e64 v8, v111, v8, s22
	v_mul_lo_u32 v106, s47, v42
	v_add_co_ci_u32_e64 v17, s46, 0, v183, s46
	v_sub_nc_u16 v57, 0, v12
	v_cmp_le_u32_e64 s46, s47, v20
	v_lshrrev_b32_e32 v58, 8, v9
	v_lshrrev_b32_e32 v9, 24, v9
	v_sub_nc_u32_e32 v18, v18, v105
	v_cmp_ne_u32_e64 s38, 0, v44
	s_and_b32 s23, s53, s23
	v_mul_hi_u32 v44, v22, s52
	v_and_b32_e32 v8, 0xff, v8
	v_lshrrev_b32_e32 v59, 16, v12
	v_cndmask_b32_e64 v12, v12, v57, s23
	v_mul_lo_u32 v107, s47, v43
	v_add_co_ci_u32_e64 v20, s46, 0, v40, s46
	v_sub_nc_u16 v108, 0, v46
	v_sub_nc_u16 v123, 0, v9
	v_cmp_le_u32_e64 s46, s47, v18
	v_sub_nc_u32_e32 v21, v21, v106
	v_bfe_i32 v109, v47, 0, 8
	s_and_b32 s38, s53, s38
	v_mul_hi_u32 v45, v8, s52
	v_and_b32_e32 v12, 0xff, v12
	v_cmp_ne_u32_e64 s29, 0, v164
	v_cndmask_b32_e64 v9, v123, v9, s24
	v_cndmask_b32_e64 v164, v46, v108, s38
	v_mul_lo_u32 v108, s47, v44
	v_add_co_ci_u32_e64 v18, s46, 0, v41, s46
	v_sub_nc_u16 v61, 0, v13
	v_cmp_le_u32_e64 s46, s47, v21
	v_lshrrev_b32_e32 v62, 8, v10
	v_lshrrev_b32_e32 v10, 24, v10
	v_sub_nc_u32_e32 v19, v19, v107
	v_cmp_gt_i16_e64 s39, 0, v109
	s_and_b32 s25, s53, s25
	v_mul_hi_u32 v46, v12, s52
	v_sub_nc_u16 v110, 0, v47
	v_and_b32_e32 v9, 0xff, v9
	v_lshrrev_b32_e32 v63, 16, v13
	v_cndmask_b32_e64 v13, v13, v61, s25
	v_mul_lo_u32 v109, s47, v45
	v_add_co_ci_u32_e64 v21, s46, 0, v42, s46
	v_sub_nc_u16 v127, 0, v10
	v_cmp_le_u32_e64 s46, s47, v19
	s_and_b32 s39, s53, s39
	v_sub_nc_u32_e32 v22, v22, v108
	v_cndmask_b32_e64 v165, v47, v110, s39
	v_mul_hi_u32 v47, v9, s52
	v_and_b32_e32 v13, 0xff, v13
	v_cndmask_b32_e64 v10, v127, v10, s26
	v_mul_lo_u32 v110, s47, v46
	v_add_co_ci_u32_e64 v19, s46, 0, v43, s46
	v_sub_nc_u16 v73, 0, v14
	v_cmp_le_u32_e64 s46, s47, v22
	v_lshrrev_b32_e32 v74, 8, v11
	v_lshrrev_b32_e32 v11, 24, v11
	v_sub_nc_u32_e32 v8, v8, v109
	v_cmp_ne_u32_e64 s40, 0, v56
	s_and_b32 s27, s53, s27
	v_mul_hi_u32 v56, v13, s52
	v_and_b32_e32 v10, 0xff, v10
	v_lshrrev_b32_e32 v75, 16, v14
	v_cndmask_b32_e64 v14, v14, v73, s27
	v_mul_lo_u32 v111, s47, v47
	v_add_co_ci_u32_e64 v22, s46, 0, v44, s46
	v_sub_nc_u16 v76, 0, v166
	v_sub_nc_u16 v120, 0, v58
	v_sub_nc_u16 v139, 0, v11
	v_cmp_le_u32_e64 s46, s47, v8
	v_sub_nc_u32_e32 v12, v12, v110
	v_bfe_i32 v77, v167, 0, 8
	v_bfe_i32 v121, v59, 0, 8
	s_and_b32 s29, s53, s29
	s_and_b32 s40, s53, s40
	v_mul_hi_u32 v57, v10, s52
	v_and_b32_e32 v14, 0xff, v14
	v_cndmask_b32_e64 v11, v139, v11, s28
	v_cndmask_b32_e64 v84, v166, v76, s29
	;; [unrolled: 1-line block ×3, first 2 shown]
	v_mul_lo_u32 v120, s47, v56
	v_add_co_ci_u32_e64 v8, s46, 0, v45, s46
	v_cmp_le_u32_e64 s46, s47, v12
	v_sub_nc_u32_e32 v9, v9, v111
	v_cmp_gt_i16_e64 vcc_hi, 0, v77
	v_cmp_gt_i16_e64 s41, 0, v121
	v_mul_hi_u32 v58, v14, s52
	v_sub_nc_u16 v78, 0, v167
	v_sub_nc_u16 v122, 0, v59
	v_and_b32_e32 v11, 0xff, v11
	v_mul_lo_u32 v121, s47, v57
	v_add_co_ci_u32_e64 v12, s46, 0, v46, s46
	v_cmp_le_u32_e64 s46, s47, v9
	s_and_b32 vcc_hi, s53, vcc_hi
	s_and_b32 s41, s53, s41
	v_sub_nc_u32_e32 v13, v13, v120
	v_cndmask_b32_e64 v85, v167, v78, vcc_hi
	v_cndmask_b32_e64 v167, v59, v122, s41
	v_mul_hi_u32 v59, v11, s52
	v_cmp_ne_u32_e64 s30, 0, v176
	v_and_b32_e32 v84, 0xff, v84
	v_bfe_i32 v89, v179, 0, 8
	v_mul_lo_u32 v122, s47, v58
	v_add_co_ci_u32_e64 v9, s46, 0, v47, s46
	v_sub_nc_u16 v88, 0, v178
	v_cmp_le_u32_e64 s46, s47, v13
	v_sub_nc_u32_e32 v10, v10, v121
	v_cmp_ne_u32_e64 s42, 0, v60
	s_and_b32 s30, s53, s30
	v_mul_hi_u32 v60, v84, s52
	v_cmp_gt_i16_e64 s31, 0, v89
	v_and_b32_e32 v85, 0xff, v85
	v_cndmask_b32_e64 v150, v178, v88, s30
	v_mul_lo_u32 v123, s47, v59
	v_add_co_ci_u32_e64 v13, s46, 0, v56, s46
	v_sub_nc_u16 v90, 0, v179
	v_sub_nc_u16 v124, 0, v62
	v_cmp_le_u32_e64 s46, s47, v10
	v_sub_nc_u32_e32 v14, v14, v122
	v_bfe_i32 v125, v63, 0, 8
	s_and_b32 s31, s53, s31
	s_and_b32 s42, s53, s42
	v_mul_hi_u32 v61, v85, s52
	v_and_b32_e32 v150, 0xff, v150
	v_cndmask_b32_e64 v151, v179, v90, s31
	v_cndmask_b32_e64 v176, v62, v124, s42
	v_mul_lo_u32 v124, s47, v60
	v_add_co_ci_u32_e64 v10, s46, 0, v57, s46
	v_cmp_le_u32_e64 s46, s47, v14
	v_sub_nc_u32_e32 v11, v11, v123
	v_cmp_gt_i16_e64 s43, 0, v125
	v_mul_hi_u32 v62, v150, s52
	v_sub_nc_u16 v126, 0, v63
	v_and_b32_e32 v151, 0xff, v151
	v_mul_lo_u32 v125, s47, v61
	v_add_co_ci_u32_e64 v14, s46, 0, v58, s46
	v_cmp_le_u32_e64 s46, s47, v11
	s_and_b32 s43, s53, s43
	v_sub_nc_u32_e32 v84, v84, v124
	v_cndmask_b32_e64 v177, v63, v126, s43
	v_mul_hi_u32 v63, v151, s52
	v_and_b32_e32 v160, 0xff, v160
	v_mul_lo_u32 v126, s47, v62
	v_add_co_ci_u32_e64 v11, s46, 0, v59, s46
	v_cmp_le_u32_e64 s46, s47, v84
	v_sub_nc_u32_e32 v85, v85, v125
	v_cmp_ne_u32_e64 s44, 0, v72
	v_mul_hi_u32 v72, v160, s52
	v_and_b32_e32 v161, 0xff, v161
	v_mul_lo_u32 v127, s47, v63
	v_add_co_ci_u32_e64 v84, s46, 0, v60, s46
	v_sub_nc_u16 v136, 0, v74
	v_cmp_le_u32_e64 s46, s47, v85
	v_sub_nc_u32_e32 v150, v150, v126
	v_bfe_i32 v137, v75, 0, 8
	s_and_b32 s44, s53, s44
	v_mul_hi_u32 v73, v161, s52
	v_and_b32_e32 v162, 0xff, v162
	v_cndmask_b32_e64 v178, v74, v136, s44
	v_mul_lo_u32 v136, s47, v72
	v_add_co_ci_u32_e64 v85, s46, 0, v61, s46
	v_cmp_le_u32_e64 s46, s47, v150
	v_sub_nc_u32_e32 v151, v151, v127
	v_cmp_gt_i16_e64 s45, 0, v137
	v_mul_hi_u32 v74, v162, s52
	v_sub_nc_u16 v138, 0, v75
	v_and_b32_e32 v163, 0xff, v163
	v_mul_lo_u32 v137, s47, v73
	v_add_co_ci_u32_e64 v150, s46, 0, v62, s46
	v_cmp_le_u32_e64 s46, s47, v151
	s_and_b32 s45, s53, s45
	v_sub_nc_u32_e32 v160, v160, v136
	v_cndmask_b32_e64 v179, v75, v138, s45
	v_mul_hi_u32 v75, v163, s52
	v_and_b32_e32 v164, 0xff, v164
	v_mul_lo_u32 v138, s47, v74
	v_add_co_ci_u32_e64 v151, s46, 0, v63, s46
	v_cmp_le_u32_e64 s46, s47, v160
	v_sub_nc_u32_e32 v161, v161, v137
	v_mul_hi_u32 v76, v164, s52
	v_and_b32_e32 v165, 0xff, v165
	v_mul_lo_u32 v139, s47, v75
	v_add_co_ci_u32_e64 v160, s46, 0, v72, s46
	v_cmp_le_u32_e64 s46, s47, v161
	v_sub_nc_u32_e32 v162, v162, v138
	;; [unrolled: 6-line block ×8, first 2 shown]
	v_mul_hi_u32 v91, v179, s52
	v_mul_lo_u32 v154, s47, v90
	v_sub_nc_u32_e32 v180, 0, v23
	v_add_co_ci_u32_e64 v167, s46, 0, v79, s46
	v_cmp_le_u32_e64 s46, s47, v176
	v_sub_nc_u32_e32 v177, v177, v153
	v_sub_nc_u32_e32 v181, 0, v15
	v_mul_lo_u32 v155, s47, v91
	v_sub_nc_u32_e32 v178, v178, v154
	v_add_co_ci_u32_e64 v176, s46, 0, v88, s46
	v_cmp_le_u32_e64 s46, s47, v177
	v_sub_nc_u32_e32 v182, 0, v16
	v_sub_nc_u32_e32 v183, 0, v17
	v_sub_nc_u32_e32 v40, 0, v20
	v_sub_nc_u32_e32 v179, v179, v155
	v_add_co_ci_u32_e64 v177, s46, 0, v89, s46
	v_cmp_le_u32_e64 s46, s47, v178
	v_sub_nc_u32_e32 v41, 0, v18
	v_sub_nc_u32_e32 v42, 0, v21
	v_sub_nc_u32_e32 v43, 0, v19
	;; [unrolled: 6-line block ×3, first 2 shown]
	v_sub_nc_u32_e32 v56, 0, v13
	v_sub_nc_u32_e32 v57, 0, v10
	;; [unrolled: 1-line block ×3, first 2 shown]
	v_add_co_ci_u32_e64 v179, s46, 0, v91, s46
	v_sub_nc_u32_e32 v59, 0, v11
	v_cndmask_b32_e64 v23, v23, v180, s13
	v_sub_nc_u32_e32 v180, 0, v84
	v_sub_nc_u32_e32 v60, 0, v85
	v_cndmask_b32_e64 v15, v181, v15, s14
	v_cndmask_b32_e64 v16, v16, v182, s15
	v_sub_nc_u32_e32 v181, 0, v150
	v_sub_nc_u32_e32 v182, 0, v151
	v_cndmask_b32_e64 v17, v183, v17, s16
	;; [unrolled: 4-line block ×8, first 2 shown]
	v_cndmask_b32_e64 v84, v84, v180, s29
	v_cndmask_b32_e64 v85, v85, v60, vcc_hi
	v_cndmask_b32_e64 v150, v150, v181, s30
	v_cndmask_b32_e64 v151, v151, v182, s31
	;; [unrolled: 1-line block ×8, first 2 shown]
	v_lshlrev_b32_e32 v180, 24, v8
	v_cndmask_b32_e64 v8, v166, v45, s40
	v_cndmask_b32_e64 v166, v167, v46, s41
	v_lshlrev_b32_e32 v167, 24, v9
	v_cndmask_b32_e64 v9, v176, v47, s42
	v_cndmask_b32_e64 v176, v177, v56, s43
	;; [unrolled: 3-line block ×3, first 2 shown]
	v_lshlrev_b32_e32 v179, 24, v11
	v_lshlrev_b32_e32 v11, 8, v84
	v_and_b32_e32 v84, 0xff, v85
	v_lshlrev_b32_e32 v85, 8, v150
	v_and_b32_e32 v150, 0xff, v151
	;; [unrolled: 2-line block ×8, first 2 shown]
	v_lshlrev_b32_e32 v15, 24, v15
	v_lshlrev_b32_e32 v17, 24, v17
	;; [unrolled: 1-line block ×5, first 2 shown]
	v_perm_b32 v11, v11, v23, 0xc0c0500
	v_lshlrev_b32_e32 v23, 16, v150
	v_perm_b32 v16, v85, v16, 0xc0c0500
	v_lshlrev_b32_e32 v85, 16, v160
	v_perm_b32 v20, v151, v20, 0xc0c0500
	v_lshlrev_b32_e32 v150, 16, v162
	v_perm_b32 v21, v161, v21, 0xc0c0500
	v_lshlrev_b32_e32 v151, 16, v164
	v_perm_b32 v22, v163, v22, 0xc0c0500
	v_lshlrev_b32_e32 v160, 16, v165
	v_perm_b32 v161, v8, v12, 0xc0c0500
	v_lshlrev_b32_e32 v162, 16, v166
	v_perm_b32 v163, v9, v13, 0xc0c0500
	v_lshlrev_b32_e32 v164, 16, v176
	v_perm_b32 v165, v10, v14, 0xc0c0500
	v_or3_b32 v8, v15, v84, v11
	v_or3_b32 v9, v17, v23, v16
	;; [unrolled: 1-line block ×8, first 2 shown]
	s_clause 0x1
	global_store_b128 v[82:83], v[8:11], off glc slc dlc
	global_store_b128 v[82:83], v[12:15], off offset:512 glc slc dlc
	v_add_co_u32 v82, s13, v82, v132
	s_delay_alu instid0(VALU_DEP_1) | instskip(SKIP_1) | instid1(SALU_CYCLE_1)
	v_add_co_ci_u32_e64 v83, s13, v83, v133, s13
	s_or_b32 s51, vcc_lo, s51
	s_and_not1_b32 exec_lo, exec_lo, s51
	s_cbranch_execnz .LBB4_693
; %bb.694:                              ;   in Loop: Header=BB4_558 Depth=2
	s_or_b32 exec_lo, exec_lo, s51
.LBB4_695:                              ;   in Loop: Header=BB4_558 Depth=2
	s_delay_alu instid0(SALU_CYCLE_1) | instskip(SKIP_2) | instid1(VALU_DEP_1)
	s_or_b32 exec_lo, exec_lo, s50
	v_lshlrev_b32_e32 v17, 10, v71
	s_mov_b32 s30, exec_lo
                                        ; implicit-def: $vgpr15
                                        ; implicit-def: $vgpr14
                                        ; implicit-def: $vgpr16
                                        ; implicit-def: $vgpr8
	v_cmpx_ne_u32_e64 v149, v17
	s_cbranch_execz .LBB4_704
; %bb.696:                              ;   in Loop: Header=BB4_558 Depth=2
	v_lshlrev_b32_e32 v2, 5, v2
	v_sub_nc_u32_e32 v9, v149, v17
	s_mov_b32 s31, exec_lo
	s_delay_alu instid0(VALU_DEP_2) | instskip(NEXT) | instid1(VALU_DEP_2)
	v_sub_nc_u32_e32 v2, v100, v2
	v_ashrrev_i32_e32 v10, 31, v9
	s_delay_alu instid0(VALU_DEP_2) | instskip(NEXT) | instid1(VALU_DEP_2)
	v_ashrrev_i32_e32 v8, 31, v2
	v_lshrrev_b32_e32 v10, 23, v10
	s_delay_alu instid0(VALU_DEP_2) | instskip(NEXT) | instid1(VALU_DEP_2)
	v_lshrrev_b32_e32 v8, 27, v8
	v_add_nc_u32_e32 v10, v9, v10
	s_delay_alu instid0(VALU_DEP_2) | instskip(NEXT) | instid1(VALU_DEP_1)
	v_add_nc_u32_e32 v8, v2, v8
	v_and_b32_e32 v11, 0xffffffe0, v8
	s_delay_alu instid0(VALU_DEP_1) | instskip(NEXT) | instid1(VALU_DEP_4)
	v_sub_nc_u32_e32 v18, v2, v11
	v_and_b32_e32 v2, 0xfffffe00, v10
	v_ashrrev_i32_e32 v11, 5, v8
	v_ashrrev_i32_e32 v10, 9, v10
	s_delay_alu instid0(VALU_DEP_4) | instskip(NEXT) | instid1(VALU_DEP_4)
	v_lshlrev_b32_e32 v8, 4, v18
	v_sub_nc_u32_e32 v19, v9, v2
	s_delay_alu instid0(VALU_DEP_2) | instskip(NEXT) | instid1(VALU_DEP_2)
	v_lshl_add_u32 v8, v11, 9, v8
	v_cmp_lt_i32_e32 vcc_lo, 15, v19
	s_delay_alu instid0(VALU_DEP_2) | instskip(SKIP_1) | instid1(VALU_DEP_1)
	v_sub_nc_u32_e32 v14, v9, v8
	v_add_co_ci_u32_e64 v10, s13, 0, v10, vcc_lo
	v_sub_nc_u32_e32 v20, v10, v11
	s_delay_alu instid0(VALU_DEP_3)
	v_cmpx_lt_i32_e32 15, v14
	s_cbranch_execz .LBB4_701
; %bb.697:                              ;   in Loop: Header=BB4_558 Depth=2
	v_cvt_f32_u32_e32 v9, s47
	s_sub_i32 s14, 0, s47
	s_mov_b32 s34, 0
	s_delay_alu instid0(VALU_DEP_1) | instskip(SKIP_2) | instid1(VALU_DEP_1)
	v_rcp_iflag_f32_e32 v9, v9
	s_waitcnt_depctr 0xfff
	v_mul_f32_e32 v9, 0x4f7ffffe, v9
	v_cvt_u32_f32_e32 v9, v9
	s_delay_alu instid0(VALU_DEP_1) | instskip(NEXT) | instid1(VALU_DEP_1)
	v_readfirstlane_b32 s13, v9
	s_mul_i32 s14, s14, s13
	s_delay_alu instid0(SALU_CYCLE_1) | instskip(NEXT) | instid1(SALU_CYCLE_1)
	s_mul_hi_u32 s14, s13, s14
	s_add_i32 s13, s13, s14
	s_delay_alu instid0(SALU_CYCLE_1) | instskip(NEXT) | instid1(SALU_CYCLE_1)
	s_mul_hi_u32 s13, s13, -1
	s_mul_i32 s14, s13, s47
	s_add_i32 s15, s13, 1
	s_not_b32 s14, s14
	s_delay_alu instid0(SALU_CYCLE_1)
	s_sub_i32 s16, s14, s47
	s_cmp_ge_u32 s14, s47
	s_cselect_b32 s13, s15, s13
	s_cselect_b32 s14, s16, s14
	s_add_i32 s15, s13, 1
	s_cmp_ge_u32 s14, s47
	s_cselect_b32 s35, s15, s13
	s_cbranch_execnz .LBB4_1836
; %bb.698:                              ;   in Loop: Header=BB4_558 Depth=2
	ds_load_b128 v[9:12], v0
	ds_load_b64 v[15:16], v0
	v_add_nc_u32_e32 v13, v8, v17
	s_cmp_lt_i32 s48, 0
	s_cselect_b32 s36, -1, 0
	s_delay_alu instid0(VALU_DEP_1) | instskip(SKIP_2) | instid1(VALU_DEP_1)
	v_ashrrev_i32_e32 v21, 31, v13
	s_waitcnt lgkmcnt(1)
	v_add_co_u32 v8, s13, v9, v13
	v_add_co_ci_u32_e64 v9, s13, v10, v21, s13
	v_add_co_u32 v10, s13, v11, v13
	s_delay_alu instid0(VALU_DEP_1) | instskip(SKIP_2) | instid1(VALU_DEP_1)
	v_add_co_ci_u32_e64 v11, s13, v12, v21, s13
	s_waitcnt lgkmcnt(0)
	v_add_co_u32 v12, s13, v15, v13
	v_add_co_ci_u32_e64 v13, s13, v16, v21, s13
.LBB4_699:                              ;   Parent Loop BB4_51 Depth=1
                                        ;     Parent Loop BB4_558 Depth=2
                                        ; =>    This Inner Loop Header: Depth=3
	global_load_b128 v[80:83], v[8:9], off slc dlc
	global_load_b128 v[160:163], v[10:11], off slc dlc
	v_add_co_u32 v8, s13, v8, v117
	v_sub_nc_u32_e32 v14, v14, v101
	v_add_co_ci_u32_e64 v9, s13, v9, v118, s13
	v_add_co_u32 v10, s13, v10, v117
	s_delay_alu instid0(VALU_DEP_1) | instskip(NEXT) | instid1(VALU_DEP_4)
	v_add_co_ci_u32_e64 v11, s13, v11, v118, s13
	v_cmp_gt_i32_e64 s13, 16, v14
	v_sub_nc_u32_e32 v20, v20, v97
	s_waitcnt vmcnt(1)
	v_and_b32_e32 v15, 0xff00ff, v80
	s_waitcnt vmcnt(0)
	v_and_b32_e32 v16, 0xff00ff, v160
	v_and_b32_e32 v21, 0xff00ff00, v80
	;; [unrolled: 1-line block ×8, first 2 shown]
	v_add_co_u32 v15, null, v16, v15
	v_and_b32_e32 v70, 0xff00ff00, v81
	v_and_b32_e32 v81, 0xff00ff, v162
	v_add_nc_u32_e32 v16, v22, v21
	v_add_co_u32 v21, null, v69, v23
	v_add_nc_u32_e32 v69, v84, v82
	v_bfe_i32 v84, v15, 0, 8
	v_and_b32_e32 v71, 0xff00ff00, v161
	v_and_b32_e32 v85, 0xff00ff, v83
	;; [unrolled: 1-line block ×3, first 2 shown]
	v_add_co_u32 v23, null, v81, v80
	v_perm_b32 v80, v16, v15, 0x7020500
	v_cmp_gt_i16_e64 s14, 0, v84
	v_and_b32_e32 v83, 0xff00ff00, v83
	v_and_b32_e32 v151, 0xff00ff00, v163
	v_add_nc_u32_e32 v22, v71, v70
	v_add_co_u32 v70, null, v150, v85
	v_sub_nc_u16 v85, 0, v15
	v_lshrrev_b32_e32 v150, 8, v16
	v_lshrrev_b32_e32 v16, 24, v16
	v_and_b32_e32 v84, 0x8000, v80
	v_and_b32_e32 v80, s48, v80
	s_and_b32 s14, s36, s14
	v_add_nc_u32_e32 v71, v151, v83
	v_perm_b32 v81, v22, v21, 0x7020500
	v_lshrrev_b32_e32 v151, 16, v15
	v_bfe_i32 v160, v21, 0, 8
	v_cndmask_b32_e64 v15, v15, v85, s14
	v_sub_nc_u16 v183, 0, v16
	v_cmp_lt_i32_e64 s20, -1, v80
	v_sub_nc_u16 v161, 0, v21
	v_cmp_gt_i16_e64 s15, 0, v160
	v_and_b32_e32 v160, 0x8000, v81
	v_and_b32_e32 v15, 0xff, v15
	v_cndmask_b32_e64 v16, v183, v16, s20
	v_perm_b32 v82, v69, v23, 0x7020500
	v_lshrrev_b32_e32 v162, 8, v22
	v_lshrrev_b32_e32 v22, 24, v22
	v_bfe_i32 v164, v23, 0, 8
	v_and_b32_e32 v81, s48, v81
	s_and_b32 s15, s36, s15
	v_cmp_ne_u32_e64 s21, 0, v160
	v_mul_hi_u32 v160, v15, s35
	v_lshrrev_b32_e32 v163, 16, v21
	v_and_b32_e32 v16, 0xff, v16
	v_cndmask_b32_e64 v21, v21, v161, s15
	v_sub_nc_u16 v40, 0, v162
	v_sub_nc_u16 v43, 0, v22
	v_cmp_gt_i16_e64 s16, 0, v164
	v_and_b32_e32 v164, 0x8000, v82
	v_and_b32_e32 v82, s48, v82
	v_cmp_lt_i32_e64 s23, -1, v81
	v_bfe_i32 v41, v163, 0, 8
	s_and_b32 s21, s36, s21
	v_mul_hi_u32 v161, v16, s35
	v_and_b32_e32 v21, 0xff, v21
	v_perm_b32 v83, v71, v70, 0x7020500
	v_bfe_i32 v176, v70, 0, 8
	v_cndmask_b32_e64 v22, v43, v22, s23
	v_cmp_lt_i32_e64 s26, -1, v82
	v_cndmask_b32_e64 v82, v162, v40, s21
	v_mul_lo_u32 v40, s47, v160
	v_sub_nc_u16 v165, 0, v23
	v_lshrrev_b32_e32 v166, 8, v69
	v_lshrrev_b32_e32 v69, 24, v69
	v_cmp_gt_i16_e64 s22, 0, v41
	s_and_b32 s16, s36, s16
	v_mul_hi_u32 v162, v21, s35
	v_sub_nc_u16 v42, 0, v163
	v_cmp_gt_i16_e64 s17, 0, v176
	v_and_b32_e32 v176, 0x8000, v83
	v_and_b32_e32 v83, s48, v83
	;; [unrolled: 1-line block ×3, first 2 shown]
	v_lshrrev_b32_e32 v167, 16, v23
	v_cndmask_b32_e64 v23, v23, v165, s16
	v_mul_lo_u32 v41, s47, v161
	v_sub_nc_u16 v47, 0, v69
	s_and_b32 s22, s36, s22
	v_sub_nc_u32_e32 v15, v15, v40
	v_cmp_lt_i32_e64 s29, -1, v83
	v_cndmask_b32_e64 v83, v163, v42, s22
	v_mul_hi_u32 v163, v22, s35
	v_and_b32_e32 v23, 0xff, v23
	v_cndmask_b32_e64 v69, v47, v69, s26
	v_mul_lo_u32 v42, s47, v162
	v_sub_nc_u16 v177, 0, v70
	v_cmp_le_u32_e64 vcc_hi, s47, v15
	v_lshrrev_b32_e32 v178, 8, v71
	v_lshrrev_b32_e32 v71, 24, v71
	v_sub_nc_u32_e32 v16, v16, v41
	v_cmp_ne_u32_e64 s24, 0, v164
	s_and_b32 s17, s36, s17
	v_mul_hi_u32 v164, v23, s35
	v_and_b32_e32 v69, 0xff, v69
	v_lshrrev_b32_e32 v179, 16, v70
	v_cndmask_b32_e64 v70, v70, v177, s17
	v_mul_lo_u32 v43, s47, v163
	v_add_co_ci_u32_e64 v15, vcc_hi, 0, v160, vcc_hi
	v_sub_nc_u16 v44, 0, v166
	v_sub_nc_u16 v59, 0, v71
	v_cmp_le_u32_e64 vcc_hi, s47, v16
	v_sub_nc_u32_e32 v21, v21, v42
	v_bfe_i32 v45, v167, 0, 8
	s_and_b32 s24, s36, s24
	v_mul_hi_u32 v165, v69, s35
	v_cmp_ne_u32_e64 s18, 0, v84
	v_and_b32_e32 v70, 0xff, v70
	v_bfe_i32 v181, v151, 0, 8
	v_cndmask_b32_e64 v71, v59, v71, s29
	v_cndmask_b32_e64 v84, v166, v44, s24
	v_mul_lo_u32 v44, s47, v164
	v_add_co_ci_u32_e64 v16, vcc_hi, 0, v161, vcc_hi
	v_sub_nc_u16 v180, 0, v150
	v_cmp_le_u32_e64 vcc_hi, s47, v21
	v_sub_nc_u32_e32 v22, v22, v43
	v_cmp_gt_i16_e64 s25, 0, v45
	s_and_b32 s18, s36, s18
	v_mul_hi_u32 v166, v70, s35
	v_sub_nc_u16 v46, 0, v167
	v_cmp_gt_i16_e64 s19, 0, v181
	v_and_b32_e32 v71, 0xff, v71
	v_cndmask_b32_e64 v80, v150, v180, s18
	v_mul_lo_u32 v45, s47, v165
	v_add_co_ci_u32_e64 v21, vcc_hi, 0, v162, vcc_hi
	v_sub_nc_u16 v182, 0, v151
	v_cmp_le_u32_e64 vcc_hi, s47, v22
	s_and_b32 s25, s36, s25
	v_sub_nc_u32_e32 v23, v23, v44
	s_and_b32 s19, s36, s19
	v_cndmask_b32_e64 v85, v167, v46, s25
	v_mul_hi_u32 v167, v71, s35
	v_and_b32_e32 v80, 0xff, v80
	v_cndmask_b32_e64 v81, v151, v182, s19
	v_mul_lo_u32 v46, s47, v166
	v_add_co_ci_u32_e64 v22, vcc_hi, 0, v163, vcc_hi
	v_cmp_le_u32_e64 vcc_hi, s47, v23
	v_sub_nc_u32_e32 v69, v69, v45
	v_cmp_ne_u32_e64 s27, 0, v176
	v_mul_hi_u32 v176, v80, s35
	v_and_b32_e32 v81, 0xff, v81
	v_mul_lo_u32 v47, s47, v167
	v_add_co_ci_u32_e64 v23, vcc_hi, 0, v164, vcc_hi
	v_sub_nc_u16 v56, 0, v178
	v_cmp_le_u32_e64 vcc_hi, s47, v69
	v_sub_nc_u32_e32 v70, v70, v46
	v_bfe_i32 v57, v179, 0, 8
	s_and_b32 s27, s36, s27
	v_mul_hi_u32 v177, v81, s35
	v_and_b32_e32 v82, 0xff, v82
	v_cndmask_b32_e64 v150, v178, v56, s27
	v_mul_lo_u32 v56, s47, v176
	v_add_co_ci_u32_e64 v69, vcc_hi, 0, v165, vcc_hi
	v_cmp_le_u32_e64 vcc_hi, s47, v70
	v_sub_nc_u32_e32 v71, v71, v47
	v_cmp_gt_i16_e64 s28, 0, v57
	v_mul_hi_u32 v178, v82, s35
	v_sub_nc_u16 v58, 0, v179
	v_and_b32_e32 v83, 0xff, v83
	v_mul_lo_u32 v57, s47, v177
	v_add_co_ci_u32_e64 v70, vcc_hi, 0, v166, vcc_hi
	v_cmp_le_u32_e64 vcc_hi, s47, v71
	s_and_b32 s28, s36, s28
	v_sub_nc_u32_e32 v80, v80, v56
	v_cndmask_b32_e64 v151, v179, v58, s28
	v_mul_hi_u32 v179, v83, s35
	v_and_b32_e32 v84, 0xff, v84
	v_mul_lo_u32 v58, s47, v178
	v_add_co_ci_u32_e64 v71, vcc_hi, 0, v167, vcc_hi
	v_cmp_le_u32_e64 vcc_hi, s47, v80
	v_sub_nc_u32_e32 v81, v81, v57
	v_mul_hi_u32 v180, v84, s35
	v_and_b32_e32 v85, 0xff, v85
	v_mul_lo_u32 v59, s47, v179
	v_add_co_ci_u32_e64 v80, vcc_hi, 0, v176, vcc_hi
	v_cmp_le_u32_e64 vcc_hi, s47, v81
	v_sub_nc_u32_e32 v82, v82, v58
	;; [unrolled: 6-line block ×4, first 2 shown]
	v_mul_hi_u32 v183, v151, s35
	v_mul_lo_u32 v62, s47, v182
	v_sub_nc_u32_e32 v160, 0, v15
	v_add_co_ci_u32_e64 v83, vcc_hi, 0, v179, vcc_hi
	v_cmp_le_u32_e64 vcc_hi, s47, v84
	v_sub_nc_u32_e32 v85, v85, v61
	v_sub_nc_u32_e32 v161, 0, v16
	v_mul_lo_u32 v63, s47, v183
	v_sub_nc_u32_e32 v150, v150, v62
	v_add_co_ci_u32_e64 v84, vcc_hi, 0, v180, vcc_hi
	v_cmp_le_u32_e64 vcc_hi, s47, v85
	v_sub_nc_u32_e32 v162, 0, v21
	v_sub_nc_u32_e32 v163, 0, v22
	;; [unrolled: 1-line block ×4, first 2 shown]
	v_add_co_ci_u32_e64 v85, vcc_hi, 0, v181, vcc_hi
	v_cmp_le_u32_e64 vcc_hi, s47, v150
	v_sub_nc_u32_e32 v165, 0, v69
	v_sub_nc_u32_e32 v166, 0, v70
	v_cndmask_b32_e64 v15, v15, v160, s14
	v_sub_nc_u32_e32 v160, 0, v80
	v_add_co_ci_u32_e64 v150, vcc_hi, 0, v182, vcc_hi
	v_cmp_le_u32_e64 vcc_hi, s47, v151
	v_sub_nc_u32_e32 v176, 0, v81
	v_cndmask_b32_e64 v16, v161, v16, s20
	v_cndmask_b32_e64 v21, v21, v162, s15
	v_sub_nc_u32_e32 v161, 0, v82
	v_add_co_ci_u32_e64 v151, vcc_hi, 0, v183, vcc_hi
	v_sub_nc_u32_e32 v162, 0, v83
	v_cndmask_b32_e64 v22, v163, v22, s23
	v_cndmask_b32_e64 v23, v23, v164, s16
	v_sub_nc_u32_e32 v163, 0, v84
	v_sub_nc_u32_e32 v164, 0, v85
	v_cndmask_b32_e64 v69, v165, v69, s26
	v_cndmask_b32_e64 v70, v70, v166, s17
	v_sub_nc_u32_e32 v165, 0, v150
	v_sub_nc_u32_e32 v166, 0, v151
	;; [unrolled: 1-line block ×3, first 2 shown]
	v_cndmask_b32_e64 v80, v80, v160, s18
	v_cndmask_b32_e64 v81, v81, v176, s19
	;; [unrolled: 1-line block ×9, first 2 shown]
	v_lshlrev_b32_e32 v80, 8, v80
	v_and_b32_e32 v81, 0xff, v81
	v_lshlrev_b32_e32 v82, 8, v82
	v_and_b32_e32 v83, 0xff, v83
	v_lshlrev_b32_e32 v84, 8, v84
	v_and_b32_e32 v85, 0xff, v85
	v_lshlrev_b32_e32 v150, 8, v150
	v_and_b32_e32 v151, 0xff, v151
	v_lshlrev_b32_e32 v16, 24, v16
	v_lshlrev_b32_e32 v22, 24, v22
	;; [unrolled: 1-line block ×5, first 2 shown]
	v_perm_b32 v15, v80, v15, 0xc0c0500
	v_lshlrev_b32_e32 v83, 16, v83
	v_perm_b32 v21, v82, v21, 0xc0c0500
	v_lshlrev_b32_e32 v82, 16, v85
	;; [unrolled: 2-line block ×3, first 2 shown]
	v_perm_b32 v70, v150, v70, 0xc0c0500
	v_or3_b32 v80, v16, v81, v15
	v_or3_b32 v81, v22, v83, v21
	;; [unrolled: 1-line block ×3, first 2 shown]
	s_or_b32 s34, s13, s34
	v_or3_b32 v83, v71, v84, v70
	global_store_b128 v[12:13], v[80:83], off glc slc dlc
	v_add_co_u32 v12, s14, v12, v117
	s_delay_alu instid0(VALU_DEP_1)
	v_add_co_ci_u32_e64 v13, s14, v13, v118, s14
	s_and_not1_b32 exec_lo, exec_lo, s34
	s_cbranch_execnz .LBB4_699
; %bb.700:                              ;   in Loop: Header=BB4_558 Depth=2
	s_or_b32 exec_lo, exec_lo, s34
.LBB4_701:                              ;   in Loop: Header=BB4_558 Depth=2
	s_delay_alu instid0(SALU_CYCLE_1) | instskip(SKIP_3) | instid1(VALU_DEP_1)
	s_or_b32 exec_lo, exec_lo, s31
	v_and_b32_e32 v9, 15, v149
	s_mov_b32 s14, s49
	s_mov_b32 s15, exec_lo
                                        ; implicit-def: $vgpr14
                                        ; implicit-def: $vgpr16
                                        ; implicit-def: $vgpr8
	v_cndmask_b32_e32 v15, v19, v9, vcc_lo
	s_delay_alu instid0(VALU_DEP_1)
	v_cmpx_ne_u32_e32 0, v15
; %bb.702:                              ;   in Loop: Header=BB4_558 Depth=2
	v_cmp_lt_i32_e64 s13, 0, v20
	v_sub_nc_u32_e32 v9, v19, v9
	s_or_b32 s14, s49, exec_lo
	s_delay_alu instid0(VALU_DEP_2) | instskip(NEXT) | instid1(VALU_DEP_1)
	v_cndmask_b32_e64 v8, 0, v97, s13
	v_sub_nc_u32_e32 v8, v8, v20
	s_delay_alu instid0(VALU_DEP_1) | instskip(NEXT) | instid1(VALU_DEP_1)
	v_lshl_add_u32 v16, v8, 5, v18
	v_ashrrev_i32_e32 v8, 31, v16
	s_delay_alu instid0(VALU_DEP_1) | instskip(NEXT) | instid1(VALU_DEP_1)
	v_lshrrev_b32_e32 v8, 27, v8
	v_dual_cndmask_b32 v9, 0, v9 :: v_dual_add_nc_u32 v8, v16, v8
	s_delay_alu instid0(VALU_DEP_1) | instskip(NEXT) | instid1(VALU_DEP_2)
	v_add3_u32 v14, v2, v17, v9
	v_ashrrev_i32_e32 v8, 5, v8
; %bb.703:                              ;   in Loop: Header=BB4_558 Depth=2
	s_or_b32 exec_lo, exec_lo, s15
	s_delay_alu instid0(SALU_CYCLE_1) | instskip(SKIP_1) | instid1(SALU_CYCLE_1)
	s_and_not1_b32 s13, s49, exec_lo
	s_and_b32 s14, s14, exec_lo
	s_or_b32 s49, s13, s14
.LBB4_704:                              ;   in Loop: Header=BB4_558 Depth=2
	s_or_b32 exec_lo, exec_lo, s30
	s_branch .LBB4_706
.LBB4_705:                              ;   in Loop: Header=BB4_558 Depth=2
	v_dual_mov_b32 v14, s14 :: v_dual_mov_b32 v15, v149
	v_mov_b32_e32 v16, v0
	v_mov_b32_e32 v8, v99
.LBB4_706:                              ;   in Loop: Header=BB4_558 Depth=2
	s_and_saveexec_b32 vcc_hi, s49
	s_cbranch_execz .LBB4_718
; %bb.707:                              ;   in Loop: Header=BB4_558 Depth=2
	v_ashrrev_i32_e32 v2, 31, v15
	s_mov_b32 s30, exec_lo
	s_delay_alu instid0(VALU_DEP_1) | instskip(NEXT) | instid1(VALU_DEP_1)
	v_lshrrev_b32_e32 v2, 23, v2
	v_add_nc_u32_e32 v2, v15, v2
	s_delay_alu instid0(VALU_DEP_1) | instskip(NEXT) | instid1(VALU_DEP_1)
	v_ashrrev_i32_e32 v17, 9, v2
	v_sub_nc_u32_e32 v2, v17, v8
	s_delay_alu instid0(VALU_DEP_1)
	v_cmpx_lt_i32_e32 0, v2
	s_cbranch_execz .LBB4_712
; %bb.708:                              ;   in Loop: Header=BB4_558 Depth=2
	v_cvt_f32_u32_e32 v9, s47
	s_sub_i32 s14, 0, s47
	s_mov_b32 s31, 0
	s_delay_alu instid0(VALU_DEP_1) | instskip(SKIP_2) | instid1(VALU_DEP_1)
	v_rcp_iflag_f32_e32 v9, v9
	s_waitcnt_depctr 0xfff
	v_mul_f32_e32 v9, 0x4f7ffffe, v9
	v_cvt_u32_f32_e32 v9, v9
	s_delay_alu instid0(VALU_DEP_1) | instskip(NEXT) | instid1(VALU_DEP_1)
	v_readfirstlane_b32 s13, v9
	s_mul_i32 s14, s14, s13
	s_delay_alu instid0(SALU_CYCLE_1) | instskip(NEXT) | instid1(SALU_CYCLE_1)
	s_mul_hi_u32 s14, s13, s14
	s_add_i32 s13, s13, s14
	s_delay_alu instid0(SALU_CYCLE_1) | instskip(NEXT) | instid1(SALU_CYCLE_1)
	s_mul_hi_u32 s13, s13, -1
	s_mul_i32 s14, s13, s47
	s_add_i32 s15, s13, 1
	s_not_b32 s14, s14
	s_delay_alu instid0(SALU_CYCLE_1)
	s_sub_i32 s16, s14, s47
	s_cmp_ge_u32 s14, s47
	s_cselect_b32 s13, s15, s13
	s_cselect_b32 s14, s16, s14
	s_add_i32 s15, s13, 1
	s_cmp_ge_u32 s14, s47
	s_cselect_b32 s34, s15, s13
	s_cbranch_execnz .LBB4_1782
; %bb.709:                              ;   in Loop: Header=BB4_558 Depth=2
	v_ashrrev_i32_e32 v9, 31, v16
	ds_load_b64 v[18:19], v0
	v_lshlrev_b32_e32 v8, 9, v8
	s_cmp_lt_i32 s48, 0
	s_cselect_b32 s35, -1, 0
	v_lshrrev_b32_e32 v9, 27, v9
	s_delay_alu instid0(VALU_DEP_1) | instskip(NEXT) | instid1(VALU_DEP_1)
	v_add_nc_u32_e32 v9, v16, v9
	v_and_b32_e32 v13, 0xffffffe0, v9
	ds_load_b128 v[9:12], v0
	v_sub_nc_u32_e32 v13, v16, v13
	s_waitcnt lgkmcnt(1)
	v_add_co_u32 v18, vcc_lo, 0x1e0, v18
	v_add_co_ci_u32_e32 v19, vcc_lo, 0, v19, vcc_lo
	s_delay_alu instid0(VALU_DEP_3) | instskip(NEXT) | instid1(VALU_DEP_1)
	v_add3_u32 v13, v14, v13, v8
	v_ashrrev_i32_e32 v20, 31, v13
	s_waitcnt lgkmcnt(0)
	v_add_co_u32 v8, vcc_lo, v9, v13
	s_delay_alu instid0(VALU_DEP_2)
	v_add_co_ci_u32_e32 v9, vcc_lo, v10, v20, vcc_lo
	v_add_co_u32 v10, vcc_lo, v11, v13
	v_add_co_ci_u32_e32 v11, vcc_lo, v12, v20, vcc_lo
	v_add_co_u32 v12, vcc_lo, v18, v13
	v_add_co_ci_u32_e32 v13, vcc_lo, v19, v20, vcc_lo
.LBB4_710:                              ;   Parent Loop BB4_51 Depth=1
                                        ;     Parent Loop BB4_558 Depth=2
                                        ; =>    This Inner Loop Header: Depth=3
	s_clause 0xf
	flat_load_u8 v71, v[8:9] slc dlc
	flat_load_u8 v182, v[8:9] offset:32 slc dlc
	flat_load_u8 v183, v[8:9] offset:64 slc dlc
	;; [unrolled: 1-line block ×15, first 2 shown]
	s_clause 0xf
	flat_load_u8 v61, v[10:11] slc dlc
	flat_load_u8 v62, v[10:11] offset:32 slc dlc
	flat_load_u8 v63, v[10:11] offset:64 slc dlc
	;; [unrolled: 1-line block ×15, first 2 shown]
	v_add_co_u32 v18, vcc_lo, 0xfffffe20, v12
	v_add_co_ci_u32_e32 v19, vcc_lo, -1, v13, vcc_lo
	v_add_co_u32 v20, vcc_lo, 0xfffffe40, v12
	v_add_co_ci_u32_e32 v21, vcc_lo, -1, v13, vcc_lo
	;; [unrolled: 2-line block ×15, first 2 shown]
	v_add_co_u32 v8, vcc_lo, v8, v117
	v_sub_nc_u32_e32 v2, v2, v97
	v_add_co_ci_u32_e32 v9, vcc_lo, v9, v118, vcc_lo
	v_add_co_u32 v10, vcc_lo, v10, v117
	v_add_co_ci_u32_e32 v11, vcc_lo, v11, v118, vcc_lo
	s_delay_alu instid0(VALU_DEP_4)
	v_cmp_gt_i32_e32 vcc_lo, 1, v2
	s_waitcnt vmcnt(15) lgkmcnt(15)
	v_add_nc_u16 v71, v61, v71
	s_waitcnt vmcnt(14) lgkmcnt(14)
	v_add_nc_u16 v182, v62, v182
	;; [unrolled: 2-line block ×5, first 2 shown]
	v_bfe_i32 v61, v71, 0, 8
	v_bfe_i32 v62, v182, 0, 8
	v_sub_nc_u16 v93, 0, v71
	v_bfe_i32 v63, v183, 0, 8
	v_sub_nc_u16 v94, 0, v182
	v_cmp_gt_i16_e64 s13, 0, v61
	v_cmp_gt_i16_e64 s14, 0, v62
	v_bfe_i32 v72, v40, 0, 8
	v_cmp_gt_i16_e64 s15, 0, v63
	v_sub_nc_u16 v95, 0, v183
	s_and_b32 s13, s35, s13
	s_and_b32 s14, s35, s14
	v_cndmask_b32_e64 v71, v71, v93, s13
	v_cndmask_b32_e64 v182, v182, v94, s14
	s_and_b32 s15, s35, s15
	v_cmp_gt_i16_e64 s16, 0, v72
	v_bfe_i32 v73, v41, 0, 8
	v_and_b32_e32 v71, 0xff, v71
	v_and_b32_e32 v182, 0xff, v182
	v_cndmask_b32_e64 v183, v183, v95, s15
	s_waitcnt vmcnt(10) lgkmcnt(10)
	v_add_nc_u16 v42, v74, v42
	v_sub_nc_u16 v104, 0, v40
	v_mul_hi_u32 v61, v71, s34
	s_and_b32 s16, s35, s16
	v_mul_hi_u32 v62, v182, s34
	v_cmp_gt_i16_e64 s17, 0, v73
	v_and_b32_e32 v183, 0xff, v183
	v_bfe_i32 v74, v42, 0, 8
	v_cndmask_b32_e64 v40, v40, v104, s16
	s_waitcnt vmcnt(9) lgkmcnt(9)
	v_add_nc_u16 v43, v75, v43
	v_mul_lo_u32 v93, s47, v61
	v_sub_nc_u16 v105, 0, v41
	s_and_b32 s17, s35, s17
	v_mul_hi_u32 v63, v183, s34
	v_cmp_gt_i16_e64 s18, 0, v74
	v_and_b32_e32 v40, 0xff, v40
	v_bfe_i32 v75, v43, 0, 8
	v_cndmask_b32_e64 v41, v41, v105, s17
	v_mul_lo_u32 v94, s47, v62
	s_waitcnt vmcnt(8) lgkmcnt(8)
	v_add_nc_u16 v44, v76, v44
	v_sub_nc_u16 v106, 0, v42
	v_sub_nc_u32_e32 v71, v71, v93
	s_and_b32 s18, s35, s18
	v_mul_hi_u32 v72, v40, s34
	v_cmp_gt_i16_e64 s19, 0, v75
	v_and_b32_e32 v41, 0xff, v41
	v_bfe_i32 v76, v44, 0, 8
	v_cndmask_b32_e64 v42, v42, v106, s18
	v_mul_lo_u32 v95, s47, v63
	s_waitcnt vmcnt(7) lgkmcnt(7)
	v_add_nc_u16 v45, v77, v45
	v_sub_nc_u16 v107, 0, v43
	v_cmp_le_u32_e64 s29, s47, v71
	v_sub_nc_u32_e32 v182, v182, v94
	s_and_b32 s19, s35, s19
	v_mul_hi_u32 v73, v41, s34
	v_cmp_gt_i16_e64 s20, 0, v76
	v_and_b32_e32 v42, 0xff, v42
	v_bfe_i32 v77, v45, 0, 8
	v_cndmask_b32_e64 v43, v43, v107, s19
	v_mul_lo_u32 v104, s47, v72
	v_add_co_ci_u32_e64 v71, s29, 0, v61, s29
	s_waitcnt vmcnt(6) lgkmcnt(6)
	v_add_nc_u16 v46, v78, v46
	v_sub_nc_u16 v108, 0, v44
	v_cmp_le_u32_e64 s29, s47, v182
	v_sub_nc_u32_e32 v183, v183, v95
	s_and_b32 s20, s35, s20
	v_mul_hi_u32 v74, v42, s34
	v_cmp_gt_i16_e64 s21, 0, v77
	v_and_b32_e32 v43, 0xff, v43
	v_bfe_i32 v78, v46, 0, 8
	v_cndmask_b32_e64 v44, v44, v108, s20
	v_mul_lo_u32 v105, s47, v73
	v_add_co_ci_u32_e64 v182, s29, 0, v62, s29
	;; [unrolled: 13-line block ×8, first 2 shown]
	v_sub_nc_u16 v123, 0, v59
	v_cmp_le_u32_e64 s29, s47, v45
	v_sub_nc_u32_e32 v46, v46, v110
	s_and_b32 s27, s35, s27
	v_mul_hi_u32 v89, v57, s34
	v_cmp_gt_i16_e64 s28, 0, v92
	v_and_b32_e32 v58, 0xff, v58
	v_cndmask_b32_e64 v59, v59, v123, s27
	v_mul_lo_u32 v120, s47, v88
	v_add_co_ci_u32_e64 v45, s29, 0, v77, s29
	v_sub_nc_u16 v124, 0, v60
	v_cmp_le_u32_e64 s29, s47, v46
	v_sub_nc_u32_e32 v47, v47, v111
	s_and_b32 s28, s35, s28
	v_mul_hi_u32 v90, v58, s34
	v_and_b32_e32 v59, 0xff, v59
	v_cndmask_b32_e64 v60, v60, v124, s28
	v_mul_lo_u32 v121, s47, v89
	v_add_co_ci_u32_e64 v46, s29, 0, v78, s29
	v_cmp_le_u32_e64 s29, s47, v47
	v_sub_nc_u32_e32 v56, v56, v120
	v_mul_hi_u32 v91, v59, s34
	v_and_b32_e32 v60, 0xff, v60
	v_mul_lo_u32 v122, s47, v90
	v_add_co_ci_u32_e64 v47, s29, 0, v79, s29
	v_cmp_le_u32_e64 s29, s47, v56
	v_sub_nc_u32_e32 v57, v57, v121
	v_mul_hi_u32 v92, v60, s34
	v_mul_lo_u32 v123, s47, v91
	v_sub_nc_u32_e32 v61, 0, v71
	v_add_co_ci_u32_e64 v56, s29, 0, v88, s29
	v_cmp_le_u32_e64 s29, s47, v57
	v_sub_nc_u32_e32 v58, v58, v122
	v_sub_nc_u32_e32 v62, 0, v182
	v_mul_lo_u32 v124, s47, v92
	v_sub_nc_u32_e32 v59, v59, v123
	v_add_co_ci_u32_e64 v57, s29, 0, v89, s29
	v_cmp_le_u32_e64 s29, s47, v58
	v_sub_nc_u32_e32 v63, 0, v183
	v_sub_nc_u32_e32 v72, 0, v40
	v_sub_nc_u32_e32 v73, 0, v41
	v_sub_nc_u32_e32 v60, v60, v124
	v_add_co_ci_u32_e64 v58, s29, 0, v90, s29
	v_cmp_le_u32_e64 s29, s47, v59
	v_sub_nc_u32_e32 v74, 0, v42
	v_sub_nc_u32_e32 v75, 0, v43
	v_sub_nc_u32_e32 v76, 0, v44
	;; [unrolled: 6-line block ×3, first 2 shown]
	v_sub_nc_u32_e32 v89, 0, v57
	v_add_co_ci_u32_e64 v60, s29, 0, v92, s29
	v_sub_nc_u32_e32 v90, 0, v58
	v_sub_nc_u32_e32 v91, 0, v59
	v_cndmask_b32_e64 v71, v71, v61, s13
	s_delay_alu instid0(VALU_DEP_4)
	v_sub_nc_u32_e32 v92, 0, v60
	v_cndmask_b32_e64 v182, v182, v62, s14
	v_cndmask_b32_e64 v183, v183, v63, s15
	;; [unrolled: 1-line block ×15, first 2 shown]
	flat_store_b8 v[18:19], v71 glc slc dlc
	flat_store_b8 v[20:21], v182 glc slc dlc
	;; [unrolled: 1-line block ×16, first 2 shown]
	v_add_co_u32 v12, s13, v12, v117
	s_delay_alu instid0(VALU_DEP_1) | instskip(SKIP_1) | instid1(SALU_CYCLE_1)
	v_add_co_ci_u32_e64 v13, s13, v13, v118, s13
	s_or_b32 s31, vcc_lo, s31
	s_and_not1_b32 exec_lo, exec_lo, s31
	s_cbranch_execnz .LBB4_710
; %bb.711:                              ;   in Loop: Header=BB4_558 Depth=2
	s_or_b32 exec_lo, exec_lo, s31
.LBB4_712:                              ;   in Loop: Header=BB4_558 Depth=2
	s_delay_alu instid0(SALU_CYCLE_1) | instskip(SKIP_2) | instid1(VALU_DEP_1)
	s_or_b32 exec_lo, exec_lo, s30
	v_lshlrev_b32_e32 v8, 9, v17
	s_mov_b32 s15, exec_lo
	v_cmpx_ne_u32_e64 v15, v8
	s_cbranch_execz .LBB4_717
; %bb.713:                              ;   in Loop: Header=BB4_558 Depth=2
	v_ashrrev_i32_e32 v9, 31, v16
	v_lshlrev_b32_e32 v2, 5, v2
	s_delay_alu instid0(VALU_DEP_2) | instskip(NEXT) | instid1(VALU_DEP_1)
	v_lshrrev_b32_e32 v9, 27, v9
	v_add_nc_u32_e32 v9, v16, v9
	s_delay_alu instid0(VALU_DEP_1) | instskip(NEXT) | instid1(VALU_DEP_1)
	v_and_b32_e32 v9, 0xffffffe0, v9
	v_sub_nc_u32_e32 v9, v16, v9
	s_delay_alu instid0(VALU_DEP_1) | instskip(NEXT) | instid1(VALU_DEP_1)
	v_sub_nc_u32_e32 v2, v9, v2
	v_add_nc_u32_e32 v8, v8, v2
	s_delay_alu instid0(VALU_DEP_1) | instskip(NEXT) | instid1(VALU_DEP_1)
	v_sub_nc_u32_e32 v2, v15, v8
	v_cmp_lt_i32_e32 vcc_lo, 0, v2
	s_and_b32 exec_lo, exec_lo, vcc_lo
	s_cbranch_execz .LBB4_717
; %bb.714:                              ;   in Loop: Header=BB4_558 Depth=2
	v_cvt_f32_u32_e32 v9, s47
	s_sub_i32 s14, 0, s47
	s_delay_alu instid0(VALU_DEP_1) | instskip(SKIP_2) | instid1(VALU_DEP_1)
	v_rcp_iflag_f32_e32 v9, v9
	s_waitcnt_depctr 0xfff
	v_mul_f32_e32 v9, 0x4f7ffffe, v9
	v_cvt_u32_f32_e32 v9, v9
	s_delay_alu instid0(VALU_DEP_1) | instskip(NEXT) | instid1(VALU_DEP_1)
	v_readfirstlane_b32 s13, v9
	s_mul_i32 s14, s14, s13
	s_delay_alu instid0(SALU_CYCLE_1) | instskip(NEXT) | instid1(SALU_CYCLE_1)
	s_mul_hi_u32 s14, s13, s14
	s_add_i32 s13, s13, s14
	s_delay_alu instid0(SALU_CYCLE_1) | instskip(NEXT) | instid1(SALU_CYCLE_1)
	s_mul_hi_u32 s13, s13, -1
	s_mul_i32 s14, s13, s47
	s_add_i32 s16, s13, 1
	s_not_b32 s14, s14
	s_delay_alu instid0(SALU_CYCLE_1)
	s_sub_i32 s17, s14, s47
	s_cmp_ge_u32 s14, s47
	s_cselect_b32 s13, s16, s13
	s_cselect_b32 s14, s17, s14
	s_add_i32 s17, s13, 1
	s_cmp_ge_u32 s14, s47
	s_mov_b32 s16, 0
	s_cselect_b32 s17, s17, s13
	s_cbranch_execnz .LBB4_1844
; %bb.715:                              ;   in Loop: Header=BB4_558 Depth=2
	ds_load_b128 v[9:12], v0
	ds_load_b64 v[15:16], v0
	v_add_nc_u32_e32 v13, v8, v14
	s_cmp_lt_i32 s48, 0
	s_cselect_b32 s18, -1, 0
	s_delay_alu instid0(VALU_DEP_1) | instskip(SKIP_2) | instid1(VALU_DEP_2)
	v_ashrrev_i32_e32 v14, 31, v13
	s_waitcnt lgkmcnt(1)
	v_add_co_u32 v8, vcc_lo, v9, v13
	v_add_co_ci_u32_e32 v9, vcc_lo, v10, v14, vcc_lo
	v_add_co_u32 v10, vcc_lo, v11, v13
	v_add_co_ci_u32_e32 v11, vcc_lo, v12, v14, vcc_lo
	s_waitcnt lgkmcnt(0)
	v_add_co_u32 v12, vcc_lo, v15, v13
	v_add_co_ci_u32_e32 v13, vcc_lo, v16, v14, vcc_lo
	s_set_inst_prefetch_distance 0x1
.LBB4_716:                              ;   Parent Loop BB4_51 Depth=1
                                        ;     Parent Loop BB4_558 Depth=2
                                        ; =>    This Inner Loop Header: Depth=3
	flat_load_u8 v14, v[8:9] slc dlc
	flat_load_u8 v15, v[10:11] slc dlc
	v_add_co_u32 v8, vcc_lo, v8, v128
	v_add_co_ci_u32_e32 v9, vcc_lo, v9, v129, vcc_lo
	v_add_co_u32 v10, vcc_lo, v10, v128
	v_add_co_ci_u32_e32 v11, vcc_lo, v11, v129, vcc_lo
	v_sub_nc_u32_e32 v2, v2, v98
	s_delay_alu instid0(VALU_DEP_1) | instskip(SKIP_2) | instid1(VALU_DEP_1)
	v_cmp_gt_i32_e64 s13, 1, v2
	s_waitcnt vmcnt(0) lgkmcnt(0)
	v_add_nc_u16 v14, v15, v14
	v_bfe_i32 v15, v14, 0, 8
	v_sub_nc_u16 v16, 0, v14
	s_delay_alu instid0(VALU_DEP_2) | instskip(SKIP_2) | instid1(VALU_DEP_2)
	v_cmp_gt_i16_e32 vcc_lo, 0, v15
	s_and_b32 vcc_lo, s18, vcc_lo
	s_or_b32 s16, s13, s16
	v_cndmask_b32_e32 v14, v14, v16, vcc_lo
	s_delay_alu instid0(VALU_DEP_1) | instskip(NEXT) | instid1(VALU_DEP_1)
	v_and_b32_e32 v14, 0xff, v14
	v_mul_hi_u32 v15, v14, s17
	s_delay_alu instid0(VALU_DEP_1) | instskip(NEXT) | instid1(VALU_DEP_1)
	v_mul_lo_u32 v16, s47, v15
	v_sub_nc_u32_e32 v14, v14, v16
	s_delay_alu instid0(VALU_DEP_1) | instskip(NEXT) | instid1(VALU_DEP_1)
	v_cmp_le_u32_e64 s14, s47, v14
	v_add_co_ci_u32_e64 v14, s14, 0, v15, s14
	s_delay_alu instid0(VALU_DEP_1) | instskip(NEXT) | instid1(VALU_DEP_1)
	v_sub_nc_u32_e32 v15, 0, v14
	v_cndmask_b32_e32 v14, v14, v15, vcc_lo
	flat_store_b8 v[12:13], v14 glc slc dlc
	v_add_co_u32 v12, vcc_lo, v12, v128
	v_add_co_ci_u32_e32 v13, vcc_lo, v13, v129, vcc_lo
	s_and_not1_b32 exec_lo, exec_lo, s16
	s_cbranch_execnz .LBB4_716
.LBB4_717:                              ;   in Loop: Header=BB4_558 Depth=2
	s_set_inst_prefetch_distance 0x2
	s_or_b32 exec_lo, exec_lo, s15
.LBB4_718:                              ;   in Loop: Header=BB4_558 Depth=2
	s_delay_alu instid0(SALU_CYCLE_1)
	s_or_b32 exec_lo, exec_lo, vcc_hi
.LBB4_719:                              ;   in Loop: Header=BB4_558 Depth=2
	s_and_saveexec_b32 s13, s3
	s_cbranch_execz .LBB4_741
; %bb.720:                              ;   in Loop: Header=BB4_558 Depth=2
	s_and_saveexec_b32 s14, s4
	s_delay_alu instid0(SALU_CYCLE_1)
	s_xor_b32 s14, exec_lo, s14
	s_cbranch_execz .LBB4_738
; %bb.721:                              ;   in Loop: Header=BB4_558 Depth=2
	s_and_saveexec_b32 s15, s1
	s_cbranch_execz .LBB4_737
; %bb.722:                              ;   in Loop: Header=BB4_558 Depth=2
	s_mov_b32 s17, exec_lo
	s_mov_b32 s16, exec_lo
	v_mbcnt_lo_u32_b32 v2, s17, 0
	s_waitcnt lgkmcnt(0)
	s_waitcnt_vscnt null, 0x0
	buffer_gl1_inv
	buffer_gl0_inv
	v_cmpx_eq_u32_e32 0, v2
	s_cbranch_execz .LBB4_724
; %bb.723:                              ;   in Loop: Header=BB4_558 Depth=2
	s_bcnt1_i32_b32 s17, s17
	s_delay_alu instid0(SALU_CYCLE_1)
	v_mov_b32_e32 v2, s17
	ds_add_u64 v0, v[2:3]
	s_cbranch_execnz .LBB4_1746
.LBB4_724:                              ;   in Loop: Header=BB4_558 Depth=2
	s_or_b32 exec_lo, exec_lo, s16
	s_cbranch_execnz .LBB4_1720
; %bb.725:                              ;   in Loop: Header=BB4_558 Depth=2
	ds_load_b64 v[8:9], v0
	v_add_co_u32 v48, vcc_lo, v48, v97
	v_add_co_ci_u32_e32 v49, vcc_lo, 0, v49, vcc_lo
	s_mov_b32 s16, exec_lo
	s_waitcnt lgkmcnt(0)
	s_delay_alu instid0(VALU_DEP_1)
	v_cmpx_lt_u64_e64 v[8:9], v[48:49]
	s_cbranch_execz .LBB4_736
; %bb.726:                              ;   in Loop: Header=BB4_558 Depth=2
	s_mov_b32 s17, 0
	s_mov_b32 s20, 0
                                        ; implicit-def: $sgpr18
                                        ; implicit-def: $sgpr19
	s_branch .LBB4_728
.LBB4_727:                              ;   in Loop: Header=BB4_728 Depth=3
	s_or_b32 exec_lo, exec_lo, s23
	s_delay_alu instid0(SALU_CYCLE_1) | instskip(NEXT) | instid1(SALU_CYCLE_1)
	s_and_b32 s21, exec_lo, s22
	s_or_b32 s17, s21, s17
	s_and_not1_b32 s18, s18, exec_lo
	s_and_b32 s21, s19, exec_lo
	s_delay_alu instid0(SALU_CYCLE_1)
	s_or_b32 s18, s18, s21
	s_and_not1_b32 exec_lo, exec_lo, s17
	s_cbranch_execz .LBB4_734
.LBB4_728:                              ;   Parent Loop BB4_51 Depth=1
                                        ;     Parent Loop BB4_558 Depth=2
                                        ; =>    This Inner Loop Header: Depth=3
	s_add_i32 s20, s20, 1
                                        ; implicit-def: $sgpr22
	s_delay_alu instid0(SALU_CYCLE_1) | instskip(SKIP_1) | instid1(SALU_CYCLE_1)
	s_cmpk_lg_i32 s20, 0x2710
	s_cselect_b32 s21, -1, 0
	s_and_b32 vcc_lo, exec_lo, s21
	s_cbranch_vccz .LBB4_732
.LBB4_729:                              ;   in Loop: Header=BB4_728 Depth=3
	s_and_not1_b32 s19, s19, exec_lo
	s_and_b32 s23, s22, exec_lo
	s_mov_b32 s22, -1
	s_or_b32 s19, s19, s23
	s_and_saveexec_b32 s23, s21
	s_cbranch_execz .LBB4_727
; %bb.730:                              ;   in Loop: Header=BB4_728 Depth=3
	s_sleep 1
	s_cbranch_execnz .LBB4_1800
; %bb.731:                              ;   in Loop: Header=BB4_728 Depth=3
	ds_load_b64 v[8:9], v0
	s_and_not1_b32 s19, s19, exec_lo
	s_waitcnt lgkmcnt(0)
	v_cmp_ge_u64_e32 vcc_lo, v[8:9], v[48:49]
	s_or_not1_b32 s22, vcc_lo, exec_lo
	s_branch .LBB4_727
.LBB4_732:                              ;   in Loop: Header=BB4_728 Depth=3
	s_cbranch_execnz .LBB4_1818
; %bb.733:                              ;   in Loop: Header=BB4_728 Depth=3
	ds_load_b64 v[8:9], v0
	s_and_not1_b32 s21, s21, exec_lo
	s_mov_b32 s20, 0
	s_mov_b32 s22, -1
	s_waitcnt lgkmcnt(0)
	flat_load_b32 v2, v[8:9] glc
	s_waitcnt vmcnt(0) lgkmcnt(0)
	buffer_gl1_inv
	buffer_gl0_inv
	v_cmp_eq_u32_e32 vcc_lo, 0, v2
	s_and_b32 s23, vcc_lo, exec_lo
	s_delay_alu instid0(SALU_CYCLE_1)
	s_or_b32 s21, s21, s23
	s_branch .LBB4_729
.LBB4_734:                              ;   in Loop: Header=BB4_558 Depth=2
	s_or_b32 exec_lo, exec_lo, s17
	s_and_saveexec_b32 s17, s18
	s_delay_alu instid0(SALU_CYCLE_1)
	s_xor_b32 s17, exec_lo, s17
	s_cbranch_execz .LBB4_736
; %bb.735:                              ;   in Loop: Header=BB4_558 Depth=2
	ds_store_b32 v0, v134
	s_cbranch_execnz .LBB4_1922
.LBB4_736:                              ;   in Loop: Header=BB4_558 Depth=2
	s_or_b32 exec_lo, exec_lo, s16
	;;#ASMSTART
	s_wakeup
	;;#ASMEND
.LBB4_737:                              ;   in Loop: Header=BB4_558 Depth=2
	s_or_b32 exec_lo, exec_lo, s15
.LBB4_738:                              ;   in Loop: Header=BB4_558 Depth=2
	s_and_not1_saveexec_b32 s14, s14
	s_cbranch_execz .LBB4_740
; %bb.739:                              ;   in Loop: Header=BB4_558 Depth=2
	s_waitcnt lgkmcnt(0)
	s_waitcnt_vscnt null, 0x0
	buffer_gl1_inv
	buffer_gl0_inv
	s_barrier
.LBB4_740:                              ;   in Loop: Header=BB4_558 Depth=2
	s_or_b32 exec_lo, exec_lo, s14
.LBB4_741:                              ;   in Loop: Header=BB4_558 Depth=2
	s_delay_alu instid0(SALU_CYCLE_1) | instskip(SKIP_1) | instid1(SALU_CYCLE_1)
	s_or_b32 exec_lo, exec_lo, s13
                                        ; implicit-def: $vgpr2
	s_and_saveexec_b32 s13, s7
	s_xor_b32 s14, exec_lo, s13
	s_cbranch_execz .LBB4_745
; %bb.742:                              ;   in Loop: Header=BB4_558 Depth=2
	v_and_b32_e32 v2, 16, v30
	v_cmp_lt_i32_e32 vcc_lo, 0, v149
	s_delay_alu instid0(VALU_DEP_2) | instskip(SKIP_1) | instid1(VALU_DEP_2)
	v_cmp_ne_u32_e64 s13, 0, v2
	v_and_b32_e32 v2, 16, v30
	s_and_b32 s15, s13, vcc_lo
	s_delay_alu instid0(SALU_CYCLE_1)
	s_and_saveexec_b32 s13, s15
	s_cbranch_execz .LBB4_744
; %bb.743:                              ;   in Loop: Header=BB4_558 Depth=2
	v_mov_b32_e32 v2, 1
	s_waitcnt lgkmcnt(0)
	s_waitcnt_vscnt null, 0x0
	buffer_gl1_inv
	buffer_gl0_inv
.LBB4_744:                              ;   in Loop: Header=BB4_558 Depth=2
	s_or_b32 exec_lo, exec_lo, s13
.LBB4_745:                              ;   in Loop: Header=BB4_558 Depth=2
	s_and_not1_saveexec_b32 s13, s14
	s_cbranch_execz .LBB4_767
; %bb.746:                              ;   in Loop: Header=BB4_558 Depth=2
	s_and_saveexec_b32 s14, s4
	s_delay_alu instid0(SALU_CYCLE_1)
	s_xor_b32 s14, exec_lo, s14
	s_cbranch_execz .LBB4_764
; %bb.747:                              ;   in Loop: Header=BB4_558 Depth=2
	s_and_saveexec_b32 s15, s1
	s_cbranch_execz .LBB4_763
; %bb.748:                              ;   in Loop: Header=BB4_558 Depth=2
	s_mov_b32 s17, exec_lo
	s_mov_b32 s16, exec_lo
	v_mbcnt_lo_u32_b32 v2, s17, 0
	;;#ASMSTART
	s_waitcnt lgkmcnt(0) vmcnt(0)
	;;#ASMEND
	s_delay_alu instid0(VALU_DEP_1)
	v_cmpx_eq_u32_e32 0, v2
	s_cbranch_execz .LBB4_750
; %bb.749:                              ;   in Loop: Header=BB4_558 Depth=2
	s_bcnt1_i32_b32 s17, s17
	s_delay_alu instid0(SALU_CYCLE_1)
	v_mov_b32_e32 v2, s17
	ds_add_u64 v0, v[2:3]
	s_cbranch_execnz .LBB4_1750
.LBB4_750:                              ;   in Loop: Header=BB4_558 Depth=2
	s_or_b32 exec_lo, exec_lo, s16
	s_cbranch_execnz .LBB4_1724
; %bb.751:                              ;   in Loop: Header=BB4_558 Depth=2
	ds_load_b64 v[8:9], v0
	v_add_co_u32 v48, vcc_lo, v48, v97
	v_add_co_ci_u32_e32 v49, vcc_lo, 0, v49, vcc_lo
	s_mov_b32 s16, exec_lo
	s_waitcnt lgkmcnt(0)
	s_delay_alu instid0(VALU_DEP_1)
	v_cmpx_lt_u64_e64 v[8:9], v[48:49]
	s_cbranch_execz .LBB4_762
; %bb.752:                              ;   in Loop: Header=BB4_558 Depth=2
	s_mov_b32 s17, 0
	s_mov_b32 s20, 0
                                        ; implicit-def: $sgpr18
                                        ; implicit-def: $sgpr19
	s_branch .LBB4_754
.LBB4_753:                              ;   in Loop: Header=BB4_754 Depth=3
	s_or_b32 exec_lo, exec_lo, s23
	s_delay_alu instid0(SALU_CYCLE_1) | instskip(NEXT) | instid1(SALU_CYCLE_1)
	s_and_b32 s21, exec_lo, s22
	s_or_b32 s17, s21, s17
	s_and_not1_b32 s18, s18, exec_lo
	s_and_b32 s21, s19, exec_lo
	s_delay_alu instid0(SALU_CYCLE_1)
	s_or_b32 s18, s18, s21
	s_and_not1_b32 exec_lo, exec_lo, s17
	s_cbranch_execz .LBB4_760
.LBB4_754:                              ;   Parent Loop BB4_51 Depth=1
                                        ;     Parent Loop BB4_558 Depth=2
                                        ; =>    This Inner Loop Header: Depth=3
	s_add_i32 s20, s20, 1
                                        ; implicit-def: $sgpr22
	s_delay_alu instid0(SALU_CYCLE_1) | instskip(SKIP_1) | instid1(SALU_CYCLE_1)
	s_cmpk_lg_i32 s20, 0x2710
	s_cselect_b32 s21, -1, 0
	s_and_b32 vcc_lo, exec_lo, s21
	s_cbranch_vccz .LBB4_758
.LBB4_755:                              ;   in Loop: Header=BB4_754 Depth=3
	s_and_not1_b32 s19, s19, exec_lo
	s_and_b32 s23, s22, exec_lo
	s_mov_b32 s22, -1
	s_or_b32 s19, s19, s23
	s_and_saveexec_b32 s23, s21
	s_cbranch_execz .LBB4_753
; %bb.756:                              ;   in Loop: Header=BB4_754 Depth=3
	s_sleep 1
	s_cbranch_execnz .LBB4_1806
; %bb.757:                              ;   in Loop: Header=BB4_754 Depth=3
	ds_load_b64 v[8:9], v0
	s_and_not1_b32 s19, s19, exec_lo
	s_waitcnt lgkmcnt(0)
	v_cmp_ge_u64_e32 vcc_lo, v[8:9], v[48:49]
	s_or_not1_b32 s22, vcc_lo, exec_lo
	s_branch .LBB4_753
.LBB4_758:                              ;   in Loop: Header=BB4_754 Depth=3
	s_cbranch_execnz .LBB4_1824
; %bb.759:                              ;   in Loop: Header=BB4_754 Depth=3
	ds_load_b64 v[8:9], v0
	s_and_not1_b32 s21, s21, exec_lo
	s_mov_b32 s20, 0
	s_mov_b32 s22, -1
	s_waitcnt lgkmcnt(0)
	s_waitcnt_vscnt null, 0x0
	flat_load_b32 v2, v[8:9] glc
	s_waitcnt vmcnt(0) lgkmcnt(0)
	buffer_gl1_inv
	buffer_gl0_inv
	v_cmp_eq_u32_e32 vcc_lo, 0, v2
	s_and_b32 s23, vcc_lo, exec_lo
	s_delay_alu instid0(SALU_CYCLE_1)
	s_or_b32 s21, s21, s23
	s_branch .LBB4_755
.LBB4_760:                              ;   in Loop: Header=BB4_558 Depth=2
	s_or_b32 exec_lo, exec_lo, s17
	s_and_saveexec_b32 s17, s18
	s_delay_alu instid0(SALU_CYCLE_1)
	s_xor_b32 s17, exec_lo, s17
	s_cbranch_execz .LBB4_762
; %bb.761:                              ;   in Loop: Header=BB4_558 Depth=2
	ds_store_b32 v0, v134
	s_cbranch_execnz .LBB4_1924
.LBB4_762:                              ;   in Loop: Header=BB4_558 Depth=2
	s_or_b32 exec_lo, exec_lo, s16
	;;#ASMSTART
	s_wakeup
	;;#ASMEND
.LBB4_763:                              ;   in Loop: Header=BB4_558 Depth=2
	s_or_b32 exec_lo, exec_lo, s15
.LBB4_764:                              ;   in Loop: Header=BB4_558 Depth=2
	s_and_not1_saveexec_b32 s14, s14
	s_cbranch_execz .LBB4_766
; %bb.765:                              ;   in Loop: Header=BB4_558 Depth=2
	;;#ASMSTART
	s_waitcnt lgkmcnt(0) vmcnt(0)
	;;#ASMEND
	s_waitcnt lgkmcnt(0)
	s_waitcnt_vscnt null, 0x0
	s_barrier
.LBB4_766:                              ;   in Loop: Header=BB4_558 Depth=2
	s_or_b32 exec_lo, exec_lo, s14
	v_and_b32_e32 v2, 16, v30
.LBB4_767:                              ;   in Loop: Header=BB4_558 Depth=2
	s_or_b32 exec_lo, exec_lo, s13
	s_delay_alu instid0(VALU_DEP_1) | instskip(SKIP_1) | instid1(SALU_CYCLE_1)
	v_cmp_ne_u32_e32 vcc_lo, 0, v2
	s_xor_b32 s13, s10, -1
	s_and_b32 s14, vcc_lo, s13
	s_delay_alu instid0(SALU_CYCLE_1)
	s_and_saveexec_b32 s13, s14
	s_cbranch_execz .LBB4_769
; %bb.768:                              ;   in Loop: Header=BB4_558 Depth=2
	s_waitcnt lgkmcnt(0)
	s_waitcnt_vscnt null, 0x0
	flat_store_b32 v[38:39], v134
.LBB4_769:                              ;   in Loop: Header=BB4_558 Depth=2
	s_or_b32 exec_lo, exec_lo, s13
	v_and_b32_e32 v2, 48, v30
	s_mov_b32 s13, exec_lo
	s_delay_alu instid0(VALU_DEP_1)
	v_cmpx_ne_u32_e32 0, v2
	s_cbranch_execz .LBB4_771
; %bb.770:                              ;   in Loop: Header=BB4_558 Depth=2
	v_add_co_u32 v34, vcc_lo, v34, 2
	v_add_co_ci_u32_e32 v35, vcc_lo, 0, v35, vcc_lo
	s_waitcnt lgkmcnt(0)
	s_waitcnt_vscnt null, 0x0
	flat_store_b64 v[32:33], v[34:35]
.LBB4_771:                              ;   in Loop: Header=BB4_558 Depth=2
	s_or_b32 exec_lo, exec_lo, s13
	v_add_nc_u32_e32 v146, v68, v146
	v_readlane_b32 s13, v168, 1
	v_readlane_b32 s16, v168, 3
	;; [unrolled: 1-line block ×4, first 2 shown]
	v_cmp_ge_i32_e32 vcc_lo, v146, v145
	s_xor_b32 s13, s13, -1
	v_readlane_b32 s21, v168, 6
	v_readlane_b32 s37, v168, 8
	v_readlane_b32 s24, v168, 7
	s_or_b32 s13, s13, vcc_lo
	v_readlane_b32 s38, v168, 9
	s_and_b32 s14, exec_lo, s13
	v_readlane_b32 s13, v168, 2
	v_readlane_b32 s36, v168, 10
	;; [unrolled: 1-line block ×5, first 2 shown]
	v_mov_b32_e32 v2, s13
	v_readlane_b32 s25, v168, 14
	v_readlane_b32 s39, v168, 15
	;; [unrolled: 1-line block ×4, first 2 shown]
	v_readlane_b32 vcc_hi, v168, 18
	v_readlane_b32 s22, v168, 19
	v_readlane_b32 s27, v168, 20
	;; [unrolled: 1-line block ×3, first 2 shown]
	s_or_b32 s16, s14, s16
	s_mov_b32 s15, 0
	s_mov_b32 s17, 2
	s_and_not1_b32 exec_lo, exec_lo, s16
	s_cbranch_execnz .LBB4_558
; %bb.772:                              ;   in Loop: Header=BB4_51 Depth=1
	s_or_b32 exec_lo, exec_lo, s16
	v_readlane_b32 s13, v168, 0
.LBB4_773:                              ;   in Loop: Header=BB4_51 Depth=1
	s_delay_alu instid0(VALU_DEP_1) | instskip(NEXT) | instid1(SALU_CYCLE_1)
	s_or_b32 exec_lo, exec_lo, s13
	s_mov_b32 s14, exec_lo
	v_cmpx_gt_i32_e32 2, v2
	s_cbranch_execz .LBB4_859
; %bb.774:                              ;   in Loop: Header=BB4_51 Depth=1
	v_cmp_eq_u32_e64 s13, 0, v2
	s_mov_b32 s15, 0
.LBB4_775:                              ;   Parent Loop BB4_51 Depth=1
                                        ; =>  This Loop Header: Depth=2
                                        ;       Child Loop BB4_781 Depth 3
                                        ;       Child Loop BB4_813 Depth 3
	;; [unrolled: 1-line block ×3, first 2 shown]
	v_and_b32_e32 v2, 12, v30
	s_mov_b32 s17, -1
	s_mov_b32 s16, exec_lo
	s_delay_alu instid0(VALU_DEP_1)
	v_cmpx_ne_u32_e32 0, v2
	s_cbranch_execz .LBB4_789
; %bb.776:                              ;   in Loop: Header=BB4_775 Depth=2
	v_and_b32_e32 v2, 8, v30
	s_delay_alu instid0(VALU_DEP_1) | instskip(SKIP_3) | instid1(VALU_DEP_1)
	v_add_co_u32 v10, vcc_lo, v50, v2
	v_add_co_ci_u32_e32 v11, vcc_lo, 0, v51, vcc_lo
	v_add_co_u32 v8, vcc_lo, v34, 2
	v_add_co_ci_u32_e32 v9, vcc_lo, 0, v35, vcc_lo
	v_cmp_lt_u64_e32 vcc_lo, v[10:11], v[8:9]
	v_mov_b32_e32 v10, 1
	s_and_saveexec_b32 s17, vcc_lo
	s_cbranch_execz .LBB4_788
; %bb.777:                              ;   in Loop: Header=BB4_775 Depth=2
	v_mov_b32_e32 v10, 0
	s_mov_b32 s18, 0
                                        ; implicit-def: $sgpr19
	s_branch .LBB4_781
.LBB4_778:                              ;   in Loop: Header=BB4_781 Depth=3
	s_or_b32 exec_lo, exec_lo, s42
	v_mov_b32_e32 v11, 0
	s_or_not1_b32 s41, s41, exec_lo
.LBB4_779:                              ;   in Loop: Header=BB4_781 Depth=3
	s_or_b32 exec_lo, exec_lo, s40
	s_delay_alu instid0(VALU_DEP_1) | instskip(SKIP_2) | instid1(SALU_CYCLE_1)
	v_mov_b32_e32 v10, v11
	s_and_not1_b32 s19, s19, exec_lo
	s_and_b32 vcc_lo, s41, exec_lo
	s_or_b32 s19, s19, vcc_lo
.LBB4_780:                              ;   in Loop: Header=BB4_781 Depth=3
	s_or_b32 exec_lo, exec_lo, s35
	s_waitcnt vmcnt(0) lgkmcnt(0)
	v_add_co_u32 v11, vcc_lo, v50, v2
	v_add_co_ci_u32_e32 v12, vcc_lo, 0, v51, vcc_lo
	s_xor_b32 s35, s19, -1
	s_delay_alu instid0(VALU_DEP_1) | instskip(SKIP_1) | instid1(SALU_CYCLE_1)
	v_cmp_ge_u64_e32 vcc_lo, v[11:12], v[8:9]
	s_or_b32 vcc_lo, s35, vcc_lo
	s_and_b32 vcc_lo, exec_lo, vcc_lo
	s_delay_alu instid0(SALU_CYCLE_1) | instskip(NEXT) | instid1(SALU_CYCLE_1)
	s_or_b32 s18, vcc_lo, s18
	s_and_not1_b32 exec_lo, exec_lo, s18
	s_cbranch_execz .LBB4_787
.LBB4_781:                              ;   Parent Loop BB4_51 Depth=1
                                        ;     Parent Loop BB4_775 Depth=2
                                        ; =>    This Inner Loop Header: Depth=3
	s_sleep 1
	flat_load_b64 v[50:51], v[32:33] glc
	v_and_b32_e32 v11, 64, v30
	s_and_not1_b32 s19, s19, exec_lo
	s_mov_b32 s35, exec_lo
	s_delay_alu instid0(VALU_DEP_1)
	v_cmpx_eq_u32_e32 0, v11
	s_cbranch_execz .LBB4_780
; %bb.782:                              ;   in Loop: Header=BB4_781 Depth=3
	v_add_nc_u32_e32 v11, 1, v10
	s_mov_b32 s41, -1
	s_mov_b32 s40, exec_lo
	v_cmpx_lt_i32_e32 0x270e, v10
	s_cbranch_execz .LBB4_779
; %bb.783:                              ;   in Loop: Header=BB4_781 Depth=3
	s_cbranch_execnz .LBB4_1520
; %bb.784:                              ;   in Loop: Header=BB4_781 Depth=3
	ds_load_b64 v[10:11], v0
	s_mov_b32 s42, exec_lo
	s_waitcnt vmcnt(0) lgkmcnt(0)
	s_waitcnt_vscnt null, 0x0
	flat_load_b32 v10, v[10:11] glc
	s_waitcnt vmcnt(0) lgkmcnt(0)
	buffer_gl1_inv
	buffer_gl0_inv
	v_cmpx_ne_u32_e32 0, v10
	s_cbranch_execz .LBB4_778
; %bb.785:                              ;   in Loop: Header=BB4_781 Depth=3
	ds_store_b32 v0, v10
	s_cbranch_execnz .LBB4_1574
; %bb.786:                              ;   in Loop: Header=BB4_781 Depth=3
	v_or_b32_e32 v30, 64, v30
	s_xor_b32 s41, exec_lo, -1
	s_branch .LBB4_778
.LBB4_787:                              ;   in Loop: Header=BB4_775 Depth=2
	s_or_b32 exec_lo, exec_lo, s18
	v_and_b32_e32 v10, 12, v30
.LBB4_788:                              ;   in Loop: Header=BB4_775 Depth=2
	s_or_b32 exec_lo, exec_lo, s17
	s_delay_alu instid0(VALU_DEP_1)
	v_cmp_eq_u32_e32 vcc_lo, 0, v10
	;;#ASMSTART
	s_wakeup
	;;#ASMEND
	s_or_not1_b32 s17, vcc_lo, exec_lo
.LBB4_789:                              ;   in Loop: Header=BB4_775 Depth=2
	s_or_b32 exec_lo, exec_lo, s16
	v_sub_nc_u32_e32 v2, v145, v146
	s_xor_b32 s13, s13, -1
	s_delay_alu instid0(SALU_CYCLE_1) | instskip(NEXT) | instid1(SALU_CYCLE_1)
	s_and_b32 s13, exec_lo, s13
	s_or_b32 s15, s13, s15
	s_delay_alu instid0(VALU_DEP_1) | instskip(SKIP_1) | instid1(SALU_CYCLE_1)
	v_min_i32_e32 v68, v68, v2
	s_xor_b32 s13, s17, -1
	s_and_saveexec_b32 s16, s13
	s_cbranch_execz .LBB4_804
; %bb.790:                              ;   in Loop: Header=BB4_775 Depth=2
	v_and_b32_e32 v2, 0x108, v30
	s_mov_b32 s13, exec_lo
	s_delay_alu instid0(VALU_DEP_1)
	v_cmpx_ne_u32_e32 0x108, v2
	s_xor_b32 s13, exec_lo, s13
                                        ; implicit-def: $vgpr8_vgpr9
; %bb.791:                              ;   in Loop: Header=BB4_775 Depth=2
	v_and_b32_e32 v8, 7, v34
; %bb.792:                              ;   in Loop: Header=BB4_775 Depth=2
	s_and_not1_saveexec_b32 s13, s13
	s_cbranch_execz .LBB4_794
; %bb.793:                              ;   in Loop: Header=BB4_775 Depth=2
	v_and_b32_e32 v8, 7, v34
	v_ashrrev_i32_e32 v69, 31, v68
	s_delay_alu instid0(VALU_DEP_2)
	v_mad_u64_u32 v[9:10], null, v8, 24, v[6:7]
	flat_store_b64 v[9:10], v[68:69] offset:8
.LBB4_794:                              ;   in Loop: Header=BB4_775 Depth=2
	s_or_b32 exec_lo, exec_lo, s13
	v_and_b32_e32 v2, 0x100, v30
	s_mov_b32 s13, -1
	s_mov_b32 s17, exec_lo
                                        ; implicit-def: $vgpr9_vgpr10
	s_delay_alu instid0(VALU_DEP_1)
	v_cmpx_ne_u32_e32 0, v2
	s_cbranch_execnz .LBB4_797
; %bb.795:                              ;   in Loop: Header=BB4_775 Depth=2
	s_or_b32 exec_lo, exec_lo, s17
	s_and_saveexec_b32 s17, s13
	s_cbranch_execnz .LBB4_800
.LBB4_796:                              ;   in Loop: Header=BB4_775 Depth=2
	s_or_b32 exec_lo, exec_lo, s17
	s_cbranch_execnz .LBB4_1516
	s_branch .LBB4_801
.LBB4_797:                              ;   in Loop: Header=BB4_775 Depth=2
	v_mad_u64_u32 v[11:12], null, v8, 24, v[6:7]
	s_mov_b32 s18, exec_lo
	s_delay_alu instid0(VALU_DEP_1) | instskip(NEXT) | instid1(VALU_DEP_1)
	v_mov_b32_e32 v2, v12
	v_mad_u64_u32 v[9:10], null, v3, 24, v[2:3]
	s_delay_alu instid0(VALU_DEP_1)
	v_mov_b32_e32 v12, v9
                                        ; implicit-def: $vgpr9_vgpr10
	flat_load_b32 v2, v[11:12]
	s_waitcnt vmcnt(0) lgkmcnt(0)
	v_cmp_ne_u32_e32 vcc_lo, 1, v2
	v_cmpx_eq_u32_e32 1, v2
	s_cbranch_execz .LBB4_799
; %bb.798:                              ;   in Loop: Header=BB4_775 Depth=2
	flat_load_b32 v9, v[11:12] offset:4 glc
	s_waitcnt vmcnt(0) lgkmcnt(0)
	v_ashrrev_i32_e32 v10, 31, v9
.LBB4_799:                              ;   in Loop: Header=BB4_775 Depth=2
	s_or_b32 exec_lo, exec_lo, s18
	s_delay_alu instid0(SALU_CYCLE_1)
	s_or_not1_b32 s13, vcc_lo, exec_lo
	s_or_b32 exec_lo, exec_lo, s17
	s_and_saveexec_b32 s17, s13
	s_cbranch_execz .LBB4_796
.LBB4_800:                              ;   in Loop: Header=BB4_775 Depth=2
	v_mul_lo_u32 v2, v3, v86
	v_mul_lo_u32 v11, v8, v96
	v_mad_u64_u32 v[9:10], null, v8, v86, 0
	s_delay_alu instid0(VALU_DEP_1)
	v_add3_u32 v10, v10, v11, v2
	s_or_b32 exec_lo, exec_lo, s17
	s_cbranch_execnz .LBB4_1516
.LBB4_801:                              ;   in Loop: Header=BB4_775 Depth=2
	s_delay_alu instid0(VALU_DEP_2)
	v_add_co_u32 v8, vcc_lo, v36, v9
	v_and_b32_e32 v2, 0x2000, v30
	v_add_co_ci_u32_e32 v9, vcc_lo, v37, v10, vcc_lo
	s_mov_b32 s13, exec_lo
	ds_store_b64 v0, v[8:9]
	v_cmpx_ne_u32_e32 0, v2
	s_cbranch_execz .LBB4_803
; %bb.802:                              ;   in Loop: Header=BB4_775 Depth=2
	ds_load_b64 v[8:9], v0 offset:584
	s_waitcnt lgkmcnt(0)
	v_add_co_u32 v8, vcc_lo, v8, 1
	v_add_co_ci_u32_e32 v9, vcc_lo, 0, v9, vcc_lo
	ds_store_b64 v0, v[8:9] offset:584
.LBB4_803:                              ;   in Loop: Header=BB4_775 Depth=2
	s_or_b32 exec_lo, exec_lo, s13
	v_add_co_u32 v34, vcc_lo, v34, 2
	v_add_co_ci_u32_e32 v35, vcc_lo, 0, v35, vcc_lo
.LBB4_804:                              ;   in Loop: Header=BB4_775 Depth=2
	s_or_b32 exec_lo, exec_lo, s16
	s_and_saveexec_b32 s13, s3
	s_cbranch_execz .LBB4_826
; %bb.805:                              ;   in Loop: Header=BB4_775 Depth=2
	s_and_saveexec_b32 s16, s4
	s_delay_alu instid0(SALU_CYCLE_1)
	s_xor_b32 s16, exec_lo, s16
	s_cbranch_execz .LBB4_823
; %bb.806:                              ;   in Loop: Header=BB4_775 Depth=2
	s_and_saveexec_b32 s17, s1
	s_cbranch_execz .LBB4_822
; %bb.807:                              ;   in Loop: Header=BB4_775 Depth=2
	s_mov_b32 s19, exec_lo
	s_mov_b32 s18, exec_lo
	v_mbcnt_lo_u32_b32 v2, s19, 0
	s_waitcnt lgkmcnt(0)
	s_waitcnt_vscnt null, 0x0
	buffer_gl1_inv
	buffer_gl0_inv
	v_cmpx_eq_u32_e32 0, v2
	s_cbranch_execz .LBB4_809
; %bb.808:                              ;   in Loop: Header=BB4_775 Depth=2
	s_bcnt1_i32_b32 s19, s19
	s_delay_alu instid0(SALU_CYCLE_1)
	v_mov_b32_e32 v2, s19
	ds_add_u64 v0, v[2:3]
	s_cbranch_execnz .LBB4_1630
.LBB4_809:                              ;   in Loop: Header=BB4_775 Depth=2
	s_or_b32 exec_lo, exec_lo, s18
	s_cbranch_execnz .LBB4_1604
; %bb.810:                              ;   in Loop: Header=BB4_775 Depth=2
	ds_load_b64 v[8:9], v0
	v_add_co_u32 v48, vcc_lo, v48, v97
	v_add_co_ci_u32_e32 v49, vcc_lo, 0, v49, vcc_lo
	s_mov_b32 s18, exec_lo
	s_waitcnt lgkmcnt(0)
	s_delay_alu instid0(VALU_DEP_1)
	v_cmpx_lt_u64_e64 v[8:9], v[48:49]
	s_cbranch_execz .LBB4_821
; %bb.811:                              ;   in Loop: Header=BB4_775 Depth=2
	s_mov_b32 s19, 0
	s_mov_b32 s41, 0
                                        ; implicit-def: $sgpr35
                                        ; implicit-def: $sgpr40
	s_branch .LBB4_813
.LBB4_812:                              ;   in Loop: Header=BB4_813 Depth=3
	s_or_b32 exec_lo, exec_lo, s43
	s_delay_alu instid0(SALU_CYCLE_1) | instskip(NEXT) | instid1(SALU_CYCLE_1)
	s_and_b32 vcc_lo, exec_lo, vcc_lo
	s_or_b32 s19, vcc_lo, s19
	s_and_not1_b32 vcc_lo, s35, exec_lo
	s_and_b32 s35, s40, exec_lo
	s_delay_alu instid0(SALU_CYCLE_1)
	s_or_b32 s35, vcc_lo, s35
	s_and_not1_b32 exec_lo, exec_lo, s19
	s_cbranch_execz .LBB4_819
.LBB4_813:                              ;   Parent Loop BB4_51 Depth=1
                                        ;     Parent Loop BB4_775 Depth=2
                                        ; =>    This Inner Loop Header: Depth=3
	s_add_i32 s41, s41, 1
                                        ; implicit-def: $sgpr43
	s_delay_alu instid0(SALU_CYCLE_1) | instskip(SKIP_1) | instid1(SALU_CYCLE_1)
	s_cmpk_lg_i32 s41, 0x2710
	s_cselect_b32 s42, -1, 0
	s_and_b32 vcc_lo, exec_lo, s42
	s_cbranch_vccz .LBB4_817
.LBB4_814:                              ;   in Loop: Header=BB4_813 Depth=3
	s_and_not1_b32 s40, s40, exec_lo
	s_and_b32 s43, s43, exec_lo
	s_mov_b32 vcc_lo, -1
	s_or_b32 s40, s40, s43
	s_and_saveexec_b32 s43, s42
	s_cbranch_execz .LBB4_812
; %bb.815:                              ;   in Loop: Header=BB4_813 Depth=3
	s_sleep 1
	s_cbranch_execnz .LBB4_1678
; %bb.816:                              ;   in Loop: Header=BB4_813 Depth=3
	ds_load_b64 v[8:9], v0
	s_and_not1_b32 s40, s40, exec_lo
	s_waitcnt lgkmcnt(0)
	v_cmp_ge_u64_e32 vcc_lo, v[8:9], v[48:49]
	s_or_not1_b32 vcc_lo, vcc_lo, exec_lo
	s_branch .LBB4_812
.LBB4_817:                              ;   in Loop: Header=BB4_813 Depth=3
	s_cbranch_execnz .LBB4_1694
; %bb.818:                              ;   in Loop: Header=BB4_813 Depth=3
	ds_load_b64 v[8:9], v0
	s_and_not1_b32 s42, s42, exec_lo
	s_mov_b32 s41, 0
	s_mov_b32 s43, -1
	s_waitcnt lgkmcnt(0)
	flat_load_b32 v2, v[8:9] glc
	s_waitcnt vmcnt(0) lgkmcnt(0)
	buffer_gl1_inv
	buffer_gl0_inv
	v_cmp_eq_u32_e32 vcc_lo, 0, v2
	s_and_b32 vcc_lo, vcc_lo, exec_lo
	s_delay_alu instid0(SALU_CYCLE_1)
	s_or_b32 s42, s42, vcc_lo
	s_branch .LBB4_814
.LBB4_819:                              ;   in Loop: Header=BB4_775 Depth=2
	s_or_b32 exec_lo, exec_lo, s19
	s_and_saveexec_b32 s19, s35
	s_delay_alu instid0(SALU_CYCLE_1)
	s_xor_b32 s19, exec_lo, s19
	s_cbranch_execz .LBB4_821
; %bb.820:                              ;   in Loop: Header=BB4_775 Depth=2
	ds_store_b32 v0, v134
	s_cbranch_execnz .LBB4_1884
.LBB4_821:                              ;   in Loop: Header=BB4_775 Depth=2
	s_or_b32 exec_lo, exec_lo, s18
	;;#ASMSTART
	s_wakeup
	;;#ASMEND
.LBB4_822:                              ;   in Loop: Header=BB4_775 Depth=2
	s_or_b32 exec_lo, exec_lo, s17
.LBB4_823:                              ;   in Loop: Header=BB4_775 Depth=2
	s_and_not1_saveexec_b32 s16, s16
	s_cbranch_execz .LBB4_825
; %bb.824:                              ;   in Loop: Header=BB4_775 Depth=2
	s_waitcnt lgkmcnt(0)
	s_waitcnt_vscnt null, 0x0
	buffer_gl1_inv
	buffer_gl0_inv
	s_barrier
.LBB4_825:                              ;   in Loop: Header=BB4_775 Depth=2
	s_or_b32 exec_lo, exec_lo, s16
.LBB4_826:                              ;   in Loop: Header=BB4_775 Depth=2
	s_delay_alu instid0(SALU_CYCLE_1) | instskip(SKIP_1) | instid1(SALU_CYCLE_1)
	s_or_b32 exec_lo, exec_lo, s13
                                        ; implicit-def: $vgpr2
	s_and_saveexec_b32 s13, s7
	s_xor_b32 s16, exec_lo, s13
	s_cbranch_execz .LBB4_831
; %bb.827:                              ;   in Loop: Header=BB4_775 Depth=2
	s_cbranch_execnz .LBB4_1530
; %bb.828:                              ;   in Loop: Header=BB4_775 Depth=2
	ds_load_b32 v2, v0
	v_cmp_lt_i32_e32 vcc_lo, 0, v68
	s_waitcnt lgkmcnt(0)
	v_readfirstlane_b32 s13, v2
	v_and_b32_e32 v2, 16, v30
	s_delay_alu instid0(VALU_DEP_2) | instskip(NEXT) | instid1(VALU_DEP_1)
	s_cmp_eq_u32 s13, 0
	v_cmp_ne_u32_e64 s13, 0, v2
	s_cselect_b32 s17, -1, 0
	v_and_b32_e32 v2, 16, v30
	s_and_b32 s17, vcc_lo, s17
	s_delay_alu instid0(VALU_DEP_2) | instid1(SALU_CYCLE_1)
	s_and_b32 s17, s13, s17
	s_delay_alu instid0(SALU_CYCLE_1)
	s_and_saveexec_b32 s13, s17
	s_cbranch_execz .LBB4_830
; %bb.829:                              ;   in Loop: Header=BB4_775 Depth=2
	v_mov_b32_e32 v2, 1
	s_waitcnt_vscnt null, 0x0
	buffer_gl1_inv
	buffer_gl0_inv
.LBB4_830:                              ;   in Loop: Header=BB4_775 Depth=2
	s_or_b32 exec_lo, exec_lo, s13
.LBB4_831:                              ;   in Loop: Header=BB4_775 Depth=2
	s_and_not1_saveexec_b32 s13, s16
	s_cbranch_execz .LBB4_853
; %bb.832:                              ;   in Loop: Header=BB4_775 Depth=2
	s_and_saveexec_b32 s16, s4
	s_delay_alu instid0(SALU_CYCLE_1)
	s_xor_b32 s16, exec_lo, s16
	s_cbranch_execz .LBB4_850
; %bb.833:                              ;   in Loop: Header=BB4_775 Depth=2
	s_and_saveexec_b32 s17, s1
	s_cbranch_execz .LBB4_849
; %bb.834:                              ;   in Loop: Header=BB4_775 Depth=2
	s_mov_b32 s19, exec_lo
	s_mov_b32 s18, exec_lo
	v_mbcnt_lo_u32_b32 v2, s19, 0
	;;#ASMSTART
	s_waitcnt lgkmcnt(0) vmcnt(0)
	;;#ASMEND
	s_delay_alu instid0(VALU_DEP_1)
	v_cmpx_eq_u32_e32 0, v2
	s_cbranch_execz .LBB4_836
; %bb.835:                              ;   in Loop: Header=BB4_775 Depth=2
	s_bcnt1_i32_b32 s19, s19
	s_delay_alu instid0(SALU_CYCLE_1)
	v_mov_b32_e32 v2, s19
	ds_add_u64 v0, v[2:3]
	s_cbranch_execnz .LBB4_1640
.LBB4_836:                              ;   in Loop: Header=BB4_775 Depth=2
	s_or_b32 exec_lo, exec_lo, s18
	s_cbranch_execnz .LBB4_1628
; %bb.837:                              ;   in Loop: Header=BB4_775 Depth=2
	ds_load_b64 v[8:9], v0
	v_add_co_u32 v48, vcc_lo, v48, v97
	v_add_co_ci_u32_e32 v49, vcc_lo, 0, v49, vcc_lo
	s_mov_b32 s18, exec_lo
	s_waitcnt lgkmcnt(0)
	s_delay_alu instid0(VALU_DEP_1)
	v_cmpx_lt_u64_e64 v[8:9], v[48:49]
	s_cbranch_execz .LBB4_848
; %bb.838:                              ;   in Loop: Header=BB4_775 Depth=2
	s_mov_b32 s19, 0
	s_mov_b32 s41, 0
                                        ; implicit-def: $sgpr35
                                        ; implicit-def: $sgpr40
	s_branch .LBB4_840
.LBB4_839:                              ;   in Loop: Header=BB4_840 Depth=3
	s_or_b32 exec_lo, exec_lo, s43
	s_delay_alu instid0(SALU_CYCLE_1) | instskip(NEXT) | instid1(SALU_CYCLE_1)
	s_and_b32 vcc_lo, exec_lo, vcc_lo
	s_or_b32 s19, vcc_lo, s19
	s_and_not1_b32 vcc_lo, s35, exec_lo
	s_and_b32 s35, s40, exec_lo
	s_delay_alu instid0(SALU_CYCLE_1)
	s_or_b32 s35, vcc_lo, s35
	s_and_not1_b32 exec_lo, exec_lo, s19
	s_cbranch_execz .LBB4_846
.LBB4_840:                              ;   Parent Loop BB4_51 Depth=1
                                        ;     Parent Loop BB4_775 Depth=2
                                        ; =>    This Inner Loop Header: Depth=3
	s_add_i32 s41, s41, 1
                                        ; implicit-def: $sgpr43
	s_delay_alu instid0(SALU_CYCLE_1) | instskip(SKIP_1) | instid1(SALU_CYCLE_1)
	s_cmpk_lg_i32 s41, 0x2710
	s_cselect_b32 s42, -1, 0
	s_and_b32 vcc_lo, exec_lo, s42
	s_cbranch_vccz .LBB4_844
.LBB4_841:                              ;   in Loop: Header=BB4_840 Depth=3
	s_and_not1_b32 s40, s40, exec_lo
	s_and_b32 s43, s43, exec_lo
	s_mov_b32 vcc_lo, -1
	s_or_b32 s40, s40, s43
	s_and_saveexec_b32 s43, s42
	s_cbranch_execz .LBB4_839
; %bb.842:                              ;   in Loop: Header=BB4_840 Depth=3
	s_sleep 1
	s_cbranch_execnz .LBB4_1702
; %bb.843:                              ;   in Loop: Header=BB4_840 Depth=3
	ds_load_b64 v[8:9], v0
	s_and_not1_b32 s40, s40, exec_lo
	s_waitcnt lgkmcnt(0)
	v_cmp_ge_u64_e32 vcc_lo, v[8:9], v[48:49]
	s_or_not1_b32 vcc_lo, vcc_lo, exec_lo
	s_branch .LBB4_839
.LBB4_844:                              ;   in Loop: Header=BB4_840 Depth=3
	s_cbranch_execnz .LBB4_1714
; %bb.845:                              ;   in Loop: Header=BB4_840 Depth=3
	ds_load_b64 v[8:9], v0
	s_and_not1_b32 s42, s42, exec_lo
	s_mov_b32 s41, 0
	s_mov_b32 s43, -1
	s_waitcnt lgkmcnt(0)
	s_waitcnt_vscnt null, 0x0
	flat_load_b32 v2, v[8:9] glc
	s_waitcnt vmcnt(0) lgkmcnt(0)
	buffer_gl1_inv
	buffer_gl0_inv
	v_cmp_eq_u32_e32 vcc_lo, 0, v2
	s_and_b32 vcc_lo, vcc_lo, exec_lo
	s_delay_alu instid0(SALU_CYCLE_1)
	s_or_b32 s42, s42, vcc_lo
	s_branch .LBB4_841
.LBB4_846:                              ;   in Loop: Header=BB4_775 Depth=2
	s_or_b32 exec_lo, exec_lo, s19
	s_and_saveexec_b32 s19, s35
	s_delay_alu instid0(SALU_CYCLE_1)
	s_xor_b32 s19, exec_lo, s19
	s_cbranch_execz .LBB4_848
; %bb.847:                              ;   in Loop: Header=BB4_775 Depth=2
	ds_store_b32 v0, v134
	s_cbranch_execnz .LBB4_1896
.LBB4_848:                              ;   in Loop: Header=BB4_775 Depth=2
	s_or_b32 exec_lo, exec_lo, s18
	;;#ASMSTART
	s_wakeup
	;;#ASMEND
.LBB4_849:                              ;   in Loop: Header=BB4_775 Depth=2
	s_or_b32 exec_lo, exec_lo, s17
.LBB4_850:                              ;   in Loop: Header=BB4_775 Depth=2
	s_and_not1_saveexec_b32 s16, s16
	s_cbranch_execz .LBB4_852
; %bb.851:                              ;   in Loop: Header=BB4_775 Depth=2
	;;#ASMSTART
	s_waitcnt lgkmcnt(0) vmcnt(0)
	;;#ASMEND
	s_waitcnt lgkmcnt(0)
	s_waitcnt_vscnt null, 0x0
	s_barrier
.LBB4_852:                              ;   in Loop: Header=BB4_775 Depth=2
	s_or_b32 exec_lo, exec_lo, s16
	v_and_b32_e32 v2, 16, v30
.LBB4_853:                              ;   in Loop: Header=BB4_775 Depth=2
	s_or_b32 exec_lo, exec_lo, s13
	s_delay_alu instid0(VALU_DEP_1) | instskip(SKIP_1) | instid1(SALU_CYCLE_1)
	v_cmp_ne_u32_e32 vcc_lo, 0, v2
	s_xor_b32 s13, s10, -1
	s_and_b32 s16, vcc_lo, s13
	s_delay_alu instid0(SALU_CYCLE_1)
	s_and_saveexec_b32 s13, s16
	s_cbranch_execz .LBB4_855
; %bb.854:                              ;   in Loop: Header=BB4_775 Depth=2
	s_waitcnt lgkmcnt(0)
	s_waitcnt_vscnt null, 0x0
	flat_store_b32 v[38:39], v134
.LBB4_855:                              ;   in Loop: Header=BB4_775 Depth=2
	s_or_b32 exec_lo, exec_lo, s13
	v_and_b32_e32 v2, 48, v30
	s_mov_b32 s13, exec_lo
	s_delay_alu instid0(VALU_DEP_1)
	v_cmpx_ne_u32_e32 0, v2
	s_cbranch_execz .LBB4_857
; %bb.856:                              ;   in Loop: Header=BB4_775 Depth=2
	v_add_co_u32 v34, vcc_lo, v34, 2
	v_add_co_ci_u32_e32 v35, vcc_lo, 0, v35, vcc_lo
	s_waitcnt lgkmcnt(0)
	s_waitcnt_vscnt null, 0x0
	flat_store_b64 v[32:33], v[34:35]
.LBB4_857:                              ;   in Loop: Header=BB4_775 Depth=2
	s_or_b32 exec_lo, exec_lo, s13
	v_add_nc_u32_e32 v146, v68, v146
	s_mov_b32 s13, 0
	s_and_not1_b32 exec_lo, exec_lo, s15
	s_cbranch_execnz .LBB4_775
; %bb.858:                              ;   in Loop: Header=BB4_51 Depth=1
	s_or_b32 exec_lo, exec_lo, s15
.LBB4_859:                              ;   in Loop: Header=BB4_51 Depth=1
	s_delay_alu instid0(SALU_CYCLE_1)
	s_or_b32 exec_lo, exec_lo, s14
	s_mov_b32 s19, s38
	s_mov_b32 s18, s37
	;; [unrolled: 1-line block ×3, first 2 shown]
	s_and_not1_b32 vcc_lo, exec_lo, s39
	s_cbranch_vccnz .LBB4_1154
; %bb.860:                              ;   in Loop: Header=BB4_51 Depth=1
	s_mov_b32 s37, 1
.LBB4_861:                              ;   Parent Loop BB4_51 Depth=1
                                        ; =>  This Loop Header: Depth=2
                                        ;       Child Loop BB4_863 Depth 3
                                        ;         Child Loop BB4_872 Depth 4
                                        ;         Child Loop BB4_902 Depth 4
	;; [unrolled: 1-line block ×5, first 2 shown]
                                        ;           Child Loop BB4_957 Depth 5
                                        ;         Child Loop BB4_968 Depth 4
                                        ;         Child Loop BB4_974 Depth 4
                                        ;           Child Loop BB4_975 Depth 5
                                        ;         Child Loop BB4_989 Depth 4
                                        ;         Child Loop BB4_995 Depth 4
	;; [unrolled: 1-line block ×6, first 2 shown]
                                        ;       Child Loop BB4_1070 Depth 3
                                        ;         Child Loop BB4_1076 Depth 4
                                        ;         Child Loop BB4_1106 Depth 4
                                        ;         Child Loop BB4_1133 Depth 4
	s_delay_alu instid0(SALU_CYCLE_1) | instskip(SKIP_4) | instid1(SALU_CYCLE_1)
	s_sub_i32 s13, s31, s37
	v_mov_b32_e32 v16, 0
	s_cmp_le_i32 s23, s13
	s_mov_b32 s39, 0
	s_cselect_b32 s14, s23, 0
	s_sub_i32 s13, s13, s14
	s_delay_alu instid0(SALU_CYCLE_1) | instskip(SKIP_3) | instid1(VALU_DEP_1)
	s_ashr_i32 s14, s13, 31
	v_mul_lo_u32 v2, v65, s13
	v_mad_u64_u32 v[8:9], null, v64, s13, 0
	v_mul_lo_u32 v10, v64, s14
	v_add3_u32 v9, v9, v10, v2
	s_delay_alu instid0(VALU_DEP_3) | instskip(NEXT) | instid1(VALU_DEP_2)
	v_sub_co_u32 v10, vcc_lo, v66, v8
	v_sub_co_ci_u32_e32 v11, vcc_lo, v67, v9, vcc_lo
	s_delay_alu instid0(VALU_DEP_1) | instskip(SKIP_1) | instid1(VALU_DEP_1)
	v_cmp_lt_i64_e32 vcc_lo, v[64:65], v[10:11]
	v_cndmask_b32_e32 v10, v10, v64, vcc_lo
	v_max_i32_e32 v15, 0, v10
	s_delay_alu instid0(VALU_DEP_1) | instskip(NEXT) | instid1(VALU_DEP_1)
	v_add_nc_u32_e32 v2, 31, v15
	v_lshrrev_b32_e32 v2, 1, v2
	s_delay_alu instid0(VALU_DEP_1) | instskip(SKIP_2) | instid1(VALU_DEP_3)
	v_and_b32_e32 v11, 0x3ffffff0, v2
	v_cmp_lt_i32_e32 vcc_lo, 0, v10
	v_mov_b32_e32 v2, 0
	v_max_i32_e32 v12, s25, v11
	s_and_b32 s13, s27, vcc_lo
	s_delay_alu instid0(SALU_CYCLE_1)
	s_and_saveexec_b32 s38, s13
	s_cbranch_execz .LBB4_1068
; %bb.862:                              ;   in Loop: Header=BB4_861 Depth=2
	v_add_co_u32 v17, vcc_lo, v8, v135
	v_add_co_ci_u32_e32 v18, vcc_lo, v9, v144, vcc_lo
	v_mov_b32_e32 v16, 0
	s_mov_b32 s41, 1
	s_mov_b32 s40, -1
.LBB4_863:                              ;   Parent Loop BB4_51 Depth=1
                                        ;     Parent Loop BB4_861 Depth=2
                                        ; =>    This Loop Header: Depth=3
                                        ;         Child Loop BB4_872 Depth 4
                                        ;         Child Loop BB4_902 Depth 4
	;; [unrolled: 1-line block ×5, first 2 shown]
                                        ;           Child Loop BB4_957 Depth 5
                                        ;         Child Loop BB4_968 Depth 4
                                        ;         Child Loop BB4_974 Depth 4
                                        ;           Child Loop BB4_975 Depth 5
                                        ;         Child Loop BB4_989 Depth 4
                                        ;         Child Loop BB4_995 Depth 4
	;; [unrolled: 1-line block ×6, first 2 shown]
	s_and_saveexec_b32 s14, s0
	s_cbranch_execz .LBB4_866
; %bb.864:                              ;   in Loop: Header=BB4_863 Depth=3
	s_cbranch_execnz .LBB4_1556
; %bb.865:                              ;   in Loop: Header=BB4_863 Depth=3
	ds_load_b128 v[8:11], v0
	v_ashrrev_i32_e32 v2, 31, v16
	s_waitcnt lgkmcnt(0)
	v_add_co_u32 v13, vcc_lo, v10, v17
	v_add_co_ci_u32_e32 v14, vcc_lo, v11, v18, vcc_lo
	v_add_co_u32 v8, vcc_lo, v8, v17
	v_add_co_ci_u32_e32 v9, vcc_lo, v9, v18, vcc_lo
	s_delay_alu instid0(VALU_DEP_4) | instskip(NEXT) | instid1(VALU_DEP_4)
	v_add_co_u32 v13, vcc_lo, v13, v16
	v_add_co_ci_u32_e32 v14, vcc_lo, v14, v2, vcc_lo
	v_cmp_ne_u64_e32 vcc_lo, 0, v[10:11]
	v_add_co_u32 v8, s13, v8, v16
	s_delay_alu instid0(VALU_DEP_1) | instskip(NEXT) | instid1(VALU_DEP_4)
	v_add_co_ci_u32_e64 v9, s13, v9, v2, s13
	v_dual_cndmask_b32 v11, 0, v14 :: v_dual_cndmask_b32 v10, 0, v13
	ds_store_b64 v0, v[8:9]
	ds_store_b64 v0, v[10:11]
.LBB4_866:                              ;   in Loop: Header=BB4_863 Depth=3
	s_or_b32 exec_lo, exec_lo, s14
	v_and_b32_e32 v2, 12, v30
	s_mov_b32 s14, -1
	s_mov_b32 s13, exec_lo
	s_delay_alu instid0(VALU_DEP_1)
	v_cmpx_ne_u32_e32 0, v2
	s_cbranch_execz .LBB4_880
; %bb.867:                              ;   in Loop: Header=BB4_863 Depth=3
	v_and_b32_e32 v2, 8, v30
	s_delay_alu instid0(VALU_DEP_1) | instskip(SKIP_3) | instid1(VALU_DEP_1)
	v_add_co_u32 v10, vcc_lo, v50, v2
	v_add_co_ci_u32_e32 v11, vcc_lo, 0, v51, vcc_lo
	v_add_co_u32 v8, vcc_lo, v34, 2
	v_add_co_ci_u32_e32 v9, vcc_lo, 0, v35, vcc_lo
	v_cmp_lt_u64_e32 vcc_lo, v[10:11], v[8:9]
	v_mov_b32_e32 v10, 1
	s_and_saveexec_b32 s14, vcc_lo
	s_cbranch_execz .LBB4_879
; %bb.868:                              ;   in Loop: Header=BB4_863 Depth=3
	v_mov_b32_e32 v10, 0
	s_mov_b32 s15, 0
                                        ; implicit-def: $sgpr16
	s_branch .LBB4_872
.LBB4_869:                              ;   in Loop: Header=BB4_872 Depth=4
	s_or_b32 exec_lo, exec_lo, s44
	v_mov_b32_e32 v11, 0
	s_or_not1_b32 s43, s43, exec_lo
.LBB4_870:                              ;   in Loop: Header=BB4_872 Depth=4
	s_or_b32 exec_lo, exec_lo, s42
	s_delay_alu instid0(VALU_DEP_1) | instskip(SKIP_2) | instid1(SALU_CYCLE_1)
	v_mov_b32_e32 v10, v11
	s_and_not1_b32 s16, s16, exec_lo
	s_and_b32 vcc_lo, s43, exec_lo
	s_or_b32 s16, s16, vcc_lo
.LBB4_871:                              ;   in Loop: Header=BB4_872 Depth=4
	s_or_b32 exec_lo, exec_lo, s17
	s_waitcnt vmcnt(0) lgkmcnt(0)
	v_add_co_u32 v13, vcc_lo, v50, v2
	v_add_co_ci_u32_e32 v14, vcc_lo, 0, v51, vcc_lo
	s_xor_b32 s17, s16, -1
	s_delay_alu instid0(VALU_DEP_1) | instskip(SKIP_1) | instid1(SALU_CYCLE_1)
	v_cmp_ge_u64_e32 vcc_lo, v[13:14], v[8:9]
	s_or_b32 s17, s17, vcc_lo
	s_and_b32 s17, exec_lo, s17
	s_delay_alu instid0(SALU_CYCLE_1) | instskip(NEXT) | instid1(SALU_CYCLE_1)
	s_or_b32 s15, s17, s15
	s_and_not1_b32 exec_lo, exec_lo, s15
	s_cbranch_execz .LBB4_878
.LBB4_872:                              ;   Parent Loop BB4_51 Depth=1
                                        ;     Parent Loop BB4_861 Depth=2
                                        ;       Parent Loop BB4_863 Depth=3
                                        ; =>      This Inner Loop Header: Depth=4
	s_sleep 1
	flat_load_b64 v[50:51], v[32:33] glc
	v_and_b32_e32 v11, 64, v30
	s_and_not1_b32 s16, s16, exec_lo
	s_mov_b32 s17, exec_lo
	s_delay_alu instid0(VALU_DEP_1)
	v_cmpx_eq_u32_e32 0, v11
	s_cbranch_execz .LBB4_871
; %bb.873:                              ;   in Loop: Header=BB4_872 Depth=4
	v_add_nc_u32_e32 v11, 1, v10
	s_mov_b32 s43, -1
	s_mov_b32 s42, exec_lo
	v_cmpx_lt_i32_e32 0x270e, v10
	s_cbranch_execz .LBB4_870
; %bb.874:                              ;   in Loop: Header=BB4_872 Depth=4
	s_cbranch_execnz .LBB4_1594
; %bb.875:                              ;   in Loop: Header=BB4_872 Depth=4
	ds_load_b64 v[10:11], v0
	s_mov_b32 s44, exec_lo
	s_waitcnt vmcnt(0) lgkmcnt(0)
	s_waitcnt_vscnt null, 0x0
	flat_load_b32 v10, v[10:11] glc
	s_waitcnt vmcnt(0) lgkmcnt(0)
	buffer_gl1_inv
	buffer_gl0_inv
	v_cmpx_ne_u32_e32 0, v10
	s_cbranch_execz .LBB4_869
; %bb.876:                              ;   in Loop: Header=BB4_872 Depth=4
	ds_store_b32 v0, v10
	s_cbranch_execnz .LBB4_1676
; %bb.877:                              ;   in Loop: Header=BB4_872 Depth=4
	v_or_b32_e32 v30, 64, v30
	s_xor_b32 s43, exec_lo, -1
	s_branch .LBB4_869
.LBB4_878:                              ;   in Loop: Header=BB4_863 Depth=3
	s_or_b32 exec_lo, exec_lo, s15
	v_and_b32_e32 v10, 12, v30
.LBB4_879:                              ;   in Loop: Header=BB4_863 Depth=3
	s_or_b32 exec_lo, exec_lo, s14
	s_delay_alu instid0(VALU_DEP_1)
	v_cmp_eq_u32_e32 vcc_lo, 0, v10
	;;#ASMSTART
	s_wakeup
	;;#ASMEND
	s_or_not1_b32 s14, vcc_lo, exec_lo
.LBB4_880:                              ;   in Loop: Header=BB4_863 Depth=3
	s_or_b32 exec_lo, exec_lo, s13
	v_sub_nc_u32_e32 v2, v15, v16
	s_xor_b32 s13, s14, -1
	s_delay_alu instid0(VALU_DEP_1)
	v_min_i32_e32 v12, v12, v2
	s_and_saveexec_b32 s14, s13
	s_cbranch_execz .LBB4_893
; %bb.881:                              ;   in Loop: Header=BB4_863 Depth=3
	v_and_b32_e32 v2, 0x108, v30
	s_delay_alu instid0(VALU_DEP_1) | instskip(SKIP_2) | instid1(SALU_CYCLE_1)
	v_cmp_ne_u32_e32 vcc_lo, 0x108, v2
	v_and_b32_e32 v2, 7, v34
	s_and_saveexec_b32 s13, vcc_lo
	s_xor_b32 s13, exec_lo, s13
	s_delay_alu instid0(SALU_CYCLE_1)
	s_and_not1_saveexec_b32 s13, s13
	s_cbranch_execz .LBB4_883
; %bb.882:                              ;   in Loop: Header=BB4_863 Depth=3
	v_mad_u64_u32 v[8:9], null, v2, 24, v[6:7]
	v_ashrrev_i32_e32 v13, 31, v12
	flat_store_b64 v[8:9], v[12:13] offset:8
.LBB4_883:                              ;   in Loop: Header=BB4_863 Depth=3
	s_or_b32 exec_lo, exec_lo, s13
	v_and_b32_e32 v8, 0x100, v30
	s_mov_b32 s13, -1
	s_delay_alu instid0(VALU_DEP_1)
	v_cmp_ne_u32_e32 vcc_lo, 0, v8
                                        ; implicit-def: $vgpr8_vgpr9
	s_and_saveexec_b32 s15, vcc_lo
	s_cbranch_execnz .LBB4_886
; %bb.884:                              ;   in Loop: Header=BB4_863 Depth=3
	s_or_b32 exec_lo, exec_lo, s15
	s_and_saveexec_b32 s15, s13
	s_cbranch_execnz .LBB4_889
.LBB4_885:                              ;   in Loop: Header=BB4_863 Depth=3
	s_or_b32 exec_lo, exec_lo, s15
	s_cbranch_execnz .LBB4_1584
	s_branch .LBB4_890
.LBB4_886:                              ;   in Loop: Header=BB4_863 Depth=3
	v_mad_u64_u32 v[10:11], null, v2, 24, v[6:7]
	s_delay_alu instid0(VALU_DEP_1) | instskip(NEXT) | instid1(VALU_DEP_1)
	v_mov_b32_e32 v8, v11
	v_mad_u64_u32 v[13:14], null, v3, 24, v[8:9]
	s_delay_alu instid0(VALU_DEP_1) | instskip(SKIP_4) | instid1(VALU_DEP_1)
	v_mov_b32_e32 v11, v13
	flat_load_b32 v8, v[10:11]
	s_waitcnt vmcnt(0) lgkmcnt(0)
	v_cmp_ne_u32_e32 vcc_lo, 1, v8
	v_cmp_eq_u32_e64 s13, 1, v8
                                        ; implicit-def: $vgpr8_vgpr9
	s_and_saveexec_b32 s16, s13
	s_cbranch_execz .LBB4_888
; %bb.887:                              ;   in Loop: Header=BB4_863 Depth=3
	flat_load_b32 v8, v[10:11] offset:4 glc
	s_waitcnt vmcnt(0) lgkmcnt(0)
	v_ashrrev_i32_e32 v9, 31, v8
.LBB4_888:                              ;   in Loop: Header=BB4_863 Depth=3
	s_or_b32 exec_lo, exec_lo, s16
	s_delay_alu instid0(SALU_CYCLE_1)
	s_or_not1_b32 s13, vcc_lo, exec_lo
	s_or_b32 exec_lo, exec_lo, s15
	s_and_saveexec_b32 s15, s13
	s_cbranch_execz .LBB4_885
.LBB4_889:                              ;   in Loop: Header=BB4_863 Depth=3
	v_mul_lo_u32 v10, v3, v86
	v_mul_lo_u32 v11, v2, v96
	v_mad_u64_u32 v[8:9], null, v2, v86, 0
	s_delay_alu instid0(VALU_DEP_1)
	v_add3_u32 v9, v9, v11, v10
	s_or_b32 exec_lo, exec_lo, s15
	s_cbranch_execnz .LBB4_1584
.LBB4_890:                              ;   in Loop: Header=BB4_863 Depth=3
	s_delay_alu instid0(VALU_DEP_2)
	v_add_co_u32 v8, vcc_lo, v36, v8
	v_and_b32_e32 v2, 0x2000, v30
	v_add_co_ci_u32_e32 v9, vcc_lo, v37, v9, vcc_lo
	s_mov_b32 s13, exec_lo
	ds_store_b64 v0, v[8:9]
	v_cmpx_ne_u32_e32 0, v2
	s_cbranch_execz .LBB4_892
; %bb.891:                              ;   in Loop: Header=BB4_863 Depth=3
	ds_load_b64 v[8:9], v0 offset:584
	s_waitcnt lgkmcnt(0)
	v_add_co_u32 v8, vcc_lo, v8, 1
	v_add_co_ci_u32_e32 v9, vcc_lo, 0, v9, vcc_lo
	ds_store_b64 v0, v[8:9] offset:584
.LBB4_892:                              ;   in Loop: Header=BB4_863 Depth=3
	s_or_b32 exec_lo, exec_lo, s13
	v_add_co_u32 v34, vcc_lo, v34, 2
	v_add_co_ci_u32_e32 v35, vcc_lo, 0, v35, vcc_lo
.LBB4_893:                              ;   in Loop: Header=BB4_863 Depth=3
	s_or_b32 exec_lo, exec_lo, s14
	s_and_saveexec_b32 s13, s3
	s_cbranch_execz .LBB4_915
; %bb.894:                              ;   in Loop: Header=BB4_863 Depth=3
	s_and_saveexec_b32 s14, s4
	s_delay_alu instid0(SALU_CYCLE_1)
	s_xor_b32 s14, exec_lo, s14
	s_cbranch_execz .LBB4_912
; %bb.895:                              ;   in Loop: Header=BB4_863 Depth=3
	s_and_saveexec_b32 s15, s1
	s_cbranch_execz .LBB4_911
; %bb.896:                              ;   in Loop: Header=BB4_863 Depth=3
	s_mov_b32 s17, exec_lo
	s_mov_b32 s16, exec_lo
	v_mbcnt_lo_u32_b32 v2, s17, 0
	s_waitcnt lgkmcnt(0)
	s_waitcnt_vscnt null, 0x0
	buffer_gl1_inv
	buffer_gl0_inv
	v_cmpx_eq_u32_e32 0, v2
	s_cbranch_execz .LBB4_898
; %bb.897:                              ;   in Loop: Header=BB4_863 Depth=3
	s_bcnt1_i32_b32 s17, s17
	s_delay_alu instid0(SALU_CYCLE_1)
	v_mov_b32_e32 v2, s17
	ds_add_u64 v0, v[2:3]
	s_cbranch_execnz .LBB4_1732
.LBB4_898:                              ;   in Loop: Header=BB4_863 Depth=3
	s_or_b32 exec_lo, exec_lo, s16
	s_cbranch_execnz .LBB4_1704
; %bb.899:                              ;   in Loop: Header=BB4_863 Depth=3
	ds_load_b64 v[8:9], v0
	v_add_co_u32 v48, vcc_lo, v48, v97
	v_add_co_ci_u32_e32 v49, vcc_lo, 0, v49, vcc_lo
	s_mov_b32 s16, exec_lo
	s_waitcnt lgkmcnt(0)
	s_delay_alu instid0(VALU_DEP_1)
	v_cmpx_lt_u64_e64 v[8:9], v[48:49]
	s_cbranch_execz .LBB4_910
; %bb.900:                              ;   in Loop: Header=BB4_863 Depth=3
	s_mov_b32 s17, 0
	s_mov_b32 s44, 0
                                        ; implicit-def: $sgpr42
                                        ; implicit-def: $sgpr43
	s_branch .LBB4_902
.LBB4_901:                              ;   in Loop: Header=BB4_902 Depth=4
	s_or_b32 exec_lo, exec_lo, s46
	s_delay_alu instid0(SALU_CYCLE_1) | instskip(NEXT) | instid1(SALU_CYCLE_1)
	s_and_b32 vcc_lo, exec_lo, vcc_lo
	s_or_b32 s17, vcc_lo, s17
	s_and_not1_b32 vcc_lo, s42, exec_lo
	s_and_b32 s42, s43, exec_lo
	s_delay_alu instid0(SALU_CYCLE_1)
	s_or_b32 s42, vcc_lo, s42
	s_and_not1_b32 exec_lo, exec_lo, s17
	s_cbranch_execz .LBB4_908
.LBB4_902:                              ;   Parent Loop BB4_51 Depth=1
                                        ;     Parent Loop BB4_861 Depth=2
                                        ;       Parent Loop BB4_863 Depth=3
                                        ; =>      This Inner Loop Header: Depth=4
	s_add_i32 s44, s44, 1
                                        ; implicit-def: $sgpr46
	s_delay_alu instid0(SALU_CYCLE_1) | instskip(SKIP_1) | instid1(SALU_CYCLE_1)
	s_cmpk_lg_i32 s44, 0x2710
	s_cselect_b32 s45, -1, 0
	s_and_b32 vcc_lo, exec_lo, s45
	s_cbranch_vccz .LBB4_906
.LBB4_903:                              ;   in Loop: Header=BB4_902 Depth=4
	s_and_not1_b32 s43, s43, exec_lo
	s_and_b32 s46, s46, exec_lo
	s_mov_b32 vcc_lo, -1
	s_or_b32 s43, s43, s46
	s_and_saveexec_b32 s46, s45
	s_cbranch_execz .LBB4_901
; %bb.904:                              ;   in Loop: Header=BB4_902 Depth=4
	s_sleep 1
	s_cbranch_execnz .LBB4_1784
; %bb.905:                              ;   in Loop: Header=BB4_902 Depth=4
	ds_load_b64 v[8:9], v0
	s_and_not1_b32 s43, s43, exec_lo
	s_waitcnt lgkmcnt(0)
	v_cmp_ge_u64_e32 vcc_lo, v[8:9], v[48:49]
	s_or_not1_b32 vcc_lo, vcc_lo, exec_lo
	s_branch .LBB4_901
.LBB4_906:                              ;   in Loop: Header=BB4_902 Depth=4
	s_cbranch_execnz .LBB4_1802
; %bb.907:                              ;   in Loop: Header=BB4_902 Depth=4
	ds_load_b64 v[8:9], v0
	s_and_not1_b32 s45, s45, exec_lo
	s_mov_b32 s44, 0
	s_mov_b32 s46, -1
	s_waitcnt lgkmcnt(0)
	flat_load_b32 v2, v[8:9] glc
	s_waitcnt vmcnt(0) lgkmcnt(0)
	buffer_gl1_inv
	buffer_gl0_inv
	v_cmp_eq_u32_e32 vcc_lo, 0, v2
	s_and_b32 vcc_lo, vcc_lo, exec_lo
	s_delay_alu instid0(SALU_CYCLE_1)
	s_or_b32 s45, s45, vcc_lo
	s_branch .LBB4_903
.LBB4_908:                              ;   in Loop: Header=BB4_863 Depth=3
	s_or_b32 exec_lo, exec_lo, s17
	s_and_saveexec_b32 s17, s42
	s_delay_alu instid0(SALU_CYCLE_1)
	s_xor_b32 s17, exec_lo, s17
	s_cbranch_execz .LBB4_910
; %bb.909:                              ;   in Loop: Header=BB4_863 Depth=3
	ds_store_b32 v0, v134
	s_cbranch_execnz .LBB4_1916
.LBB4_910:                              ;   in Loop: Header=BB4_863 Depth=3
	s_or_b32 exec_lo, exec_lo, s16
	;;#ASMSTART
	s_wakeup
	;;#ASMEND
.LBB4_911:                              ;   in Loop: Header=BB4_863 Depth=3
	s_or_b32 exec_lo, exec_lo, s15
.LBB4_912:                              ;   in Loop: Header=BB4_863 Depth=3
	s_and_not1_saveexec_b32 s14, s14
	s_cbranch_execz .LBB4_914
; %bb.913:                              ;   in Loop: Header=BB4_863 Depth=3
	s_waitcnt lgkmcnt(0)
	s_waitcnt_vscnt null, 0x0
	buffer_gl1_inv
	buffer_gl0_inv
	s_barrier
.LBB4_914:                              ;   in Loop: Header=BB4_863 Depth=3
	s_or_b32 exec_lo, exec_lo, s14
.LBB4_915:                              ;   in Loop: Header=BB4_863 Depth=3
	s_delay_alu instid0(SALU_CYCLE_1)
	s_or_b32 exec_lo, exec_lo, s13
	s_cbranch_execnz .LBB4_1568
; %bb.916:                              ;   in Loop: Header=BB4_863 Depth=3
	ds_load_b32 v8, v0
	v_and_b32_e32 v2, 0x4000, v30
	s_xor_b32 s13, s2, -1
	s_delay_alu instid0(VALU_DEP_1) | instskip(SKIP_1) | instid1(SALU_CYCLE_1)
	v_cmp_ne_u32_e32 vcc_lo, 0, v2
	s_and_b32 s14, s13, vcc_lo
	s_and_saveexec_b32 s13, s14
	s_cbranch_execz .LBB4_938
; %bb.917:                              ;   in Loop: Header=BB4_863 Depth=3
	s_and_saveexec_b32 s14, s4
	s_delay_alu instid0(SALU_CYCLE_1)
	s_xor_b32 s14, exec_lo, s14
	s_cbranch_execz .LBB4_935
; %bb.918:                              ;   in Loop: Header=BB4_863 Depth=3
	s_and_saveexec_b32 s15, s1
	s_cbranch_execz .LBB4_934
; %bb.919:                              ;   in Loop: Header=BB4_863 Depth=3
	s_mov_b32 s17, exec_lo
	s_mov_b32 s16, exec_lo
	v_mbcnt_lo_u32_b32 v2, s17, 0
	s_waitcnt lgkmcnt(0)
	s_waitcnt_vscnt null, 0x0
	buffer_gl1_inv
	buffer_gl0_inv
	v_cmpx_eq_u32_e32 0, v2
	s_cbranch_execz .LBB4_921
; %bb.920:                              ;   in Loop: Header=BB4_863 Depth=3
	s_bcnt1_i32_b32 s17, s17
	s_delay_alu instid0(SALU_CYCLE_1)
	v_mov_b32_e32 v2, s17
	ds_add_u64 v0, v[2:3]
	s_cbranch_execnz .LBB4_1774
.LBB4_921:                              ;   in Loop: Header=BB4_863 Depth=3
	s_or_b32 exec_lo, exec_lo, s16
	s_cbranch_execnz .LBB4_1754
; %bb.922:                              ;   in Loop: Header=BB4_863 Depth=3
	ds_load_b64 v[9:10], v0
	v_add_co_u32 v48, vcc_lo, v48, v97
	v_add_co_ci_u32_e32 v49, vcc_lo, 0, v49, vcc_lo
	s_mov_b32 s16, exec_lo
	s_waitcnt lgkmcnt(0)
	s_delay_alu instid0(VALU_DEP_1)
	v_cmpx_lt_u64_e64 v[9:10], v[48:49]
	s_cbranch_execz .LBB4_933
; %bb.923:                              ;   in Loop: Header=BB4_863 Depth=3
	s_mov_b32 s17, 0
	s_mov_b32 s44, 0
                                        ; implicit-def: $sgpr42
                                        ; implicit-def: $sgpr43
	s_branch .LBB4_925
.LBB4_924:                              ;   in Loop: Header=BB4_925 Depth=4
	s_or_b32 exec_lo, exec_lo, s46
	s_delay_alu instid0(SALU_CYCLE_1) | instskip(NEXT) | instid1(SALU_CYCLE_1)
	s_and_b32 vcc_lo, exec_lo, vcc_lo
	s_or_b32 s17, vcc_lo, s17
	s_and_not1_b32 vcc_lo, s42, exec_lo
	s_and_b32 s42, s43, exec_lo
	s_delay_alu instid0(SALU_CYCLE_1)
	s_or_b32 s42, vcc_lo, s42
	s_and_not1_b32 exec_lo, exec_lo, s17
	s_cbranch_execz .LBB4_931
.LBB4_925:                              ;   Parent Loop BB4_51 Depth=1
                                        ;     Parent Loop BB4_861 Depth=2
                                        ;       Parent Loop BB4_863 Depth=3
                                        ; =>      This Inner Loop Header: Depth=4
	s_add_i32 s44, s44, 1
                                        ; implicit-def: $sgpr46
	s_delay_alu instid0(SALU_CYCLE_1) | instskip(SKIP_1) | instid1(SALU_CYCLE_1)
	s_cmpk_lg_i32 s44, 0x2710
	s_cselect_b32 s45, -1, 0
	s_and_b32 vcc_lo, exec_lo, s45
	s_cbranch_vccz .LBB4_929
.LBB4_926:                              ;   in Loop: Header=BB4_925 Depth=4
	s_and_not1_b32 s43, s43, exec_lo
	s_and_b32 s46, s46, exec_lo
	s_mov_b32 vcc_lo, -1
	s_or_b32 s43, s43, s46
	s_and_saveexec_b32 s46, s45
	s_cbranch_execz .LBB4_924
; %bb.927:                              ;   in Loop: Header=BB4_925 Depth=4
	s_sleep 1
	s_cbranch_execnz .LBB4_1838
; %bb.928:                              ;   in Loop: Header=BB4_925 Depth=4
	ds_load_b64 v[9:10], v0
	s_and_not1_b32 s43, s43, exec_lo
	s_waitcnt lgkmcnt(0)
	v_cmp_ge_u64_e32 vcc_lo, v[9:10], v[48:49]
	s_or_not1_b32 vcc_lo, vcc_lo, exec_lo
	s_branch .LBB4_924
.LBB4_929:                              ;   in Loop: Header=BB4_925 Depth=4
	s_cbranch_execnz .LBB4_1846
; %bb.930:                              ;   in Loop: Header=BB4_925 Depth=4
	ds_load_b64 v[9:10], v0
	s_and_not1_b32 s45, s45, exec_lo
	s_mov_b32 s44, 0
	s_mov_b32 s46, -1
	s_waitcnt lgkmcnt(0)
	flat_load_b32 v2, v[9:10] glc
	s_waitcnt vmcnt(0) lgkmcnt(0)
	buffer_gl1_inv
	buffer_gl0_inv
	v_cmp_eq_u32_e32 vcc_lo, 0, v2
	s_and_b32 vcc_lo, vcc_lo, exec_lo
	s_delay_alu instid0(SALU_CYCLE_1)
	s_or_b32 s45, s45, vcc_lo
	s_branch .LBB4_926
.LBB4_931:                              ;   in Loop: Header=BB4_863 Depth=3
	s_or_b32 exec_lo, exec_lo, s17
	s_and_saveexec_b32 s17, s42
	s_delay_alu instid0(SALU_CYCLE_1)
	s_xor_b32 s17, exec_lo, s17
	s_cbranch_execz .LBB4_933
; %bb.932:                              ;   in Loop: Header=BB4_863 Depth=3
	ds_store_b32 v0, v134
	s_cbranch_execnz .LBB4_1930
.LBB4_933:                              ;   in Loop: Header=BB4_863 Depth=3
	s_or_b32 exec_lo, exec_lo, s16
	;;#ASMSTART
	s_wakeup
	;;#ASMEND
.LBB4_934:                              ;   in Loop: Header=BB4_863 Depth=3
	s_or_b32 exec_lo, exec_lo, s15
.LBB4_935:                              ;   in Loop: Header=BB4_863 Depth=3
	s_and_not1_saveexec_b32 s14, s14
	s_cbranch_execz .LBB4_937
; %bb.936:                              ;   in Loop: Header=BB4_863 Depth=3
	s_waitcnt lgkmcnt(0)
	s_waitcnt_vscnt null, 0x0
	buffer_gl1_inv
	buffer_gl0_inv
	s_barrier
.LBB4_937:                              ;   in Loop: Header=BB4_863 Depth=3
	s_or_b32 exec_lo, exec_lo, s14
.LBB4_938:                              ;   in Loop: Header=BB4_863 Depth=3
	s_delay_alu instid0(SALU_CYCLE_1)
	s_or_b32 exec_lo, exec_lo, s13
	s_cbranch_execnz .LBB4_1624
; %bb.939:                              ;   in Loop: Header=BB4_863 Depth=3
	ds_load_b64 v[9:10], v0
	v_mov_b32_e32 v19, 0
	s_waitcnt lgkmcnt(0)
	v_cmp_eq_u64_e32 vcc_lo, 0, v[9:10]
	s_or_b32 s13, vcc_lo, vcc_lo
	s_delay_alu instid0(SALU_CYCLE_1)
	s_and_b32 vcc_lo, exec_lo, s13
	s_cbranch_vccnz .LBB4_1014
; %bb.940:                              ;   in Loop: Header=BB4_863 Depth=3
	v_cmp_eq_u32_e32 vcc_lo, 0, v8
	s_cbranch_execnz .LBB4_1698
; %bb.941:                              ;   in Loop: Header=BB4_863 Depth=3
	ds_load_b64 v[8:9], v0
	v_cndmask_b32_e32 v19, 0, v12, vcc_lo
	s_waitcnt lgkmcnt(0)
	v_cmp_ne_u64_e64 s13, 0, v[8:9]
	s_delay_alu instid0(VALU_DEP_1)
	s_and_b32 vcc_lo, exec_lo, s13
	s_cbranch_vccz .LBB4_979
; %bb.942:                              ;   in Loop: Header=BB4_863 Depth=3
	s_mov_b32 s13, -1
	s_and_saveexec_b32 s14, s6
	s_cbranch_execz .LBB4_944
; %bb.943:                              ;   in Loop: Header=BB4_863 Depth=3
	ds_load_b32 v2, v0 offset:720
	s_waitcnt lgkmcnt(0)
	v_and_b32_e32 v2, 15, v2
	s_delay_alu instid0(VALU_DEP_1)
	v_cmp_eq_u32_e32 vcc_lo, 0, v2
	s_or_not1_b32 s13, vcc_lo, exec_lo
.LBB4_944:                              ;   in Loop: Header=BB4_863 Depth=3
	s_or_b32 exec_lo, exec_lo, s14
	s_and_saveexec_b32 s14, s12
	s_cbranch_execz .LBB4_946
; %bb.945:                              ;   in Loop: Header=BB4_863 Depth=3
	ds_load_b32 v2, v0 offset:784
	s_waitcnt lgkmcnt(0)
	v_and_b32_e32 v2, 15, v2
	s_delay_alu instid0(VALU_DEP_1) | instskip(SKIP_3) | instid1(SALU_CYCLE_1)
	v_cmp_eq_u32_e32 vcc_lo, 0, v2
	s_and_b32 s15, s13, vcc_lo
	s_and_not1_b32 s13, s13, exec_lo
	s_and_b32 s15, s15, exec_lo
	s_or_b32 s13, s13, s15
.LBB4_946:                              ;   in Loop: Header=BB4_863 Depth=3
	s_or_b32 exec_lo, exec_lo, s14
	s_xor_b32 s13, s13, -1
	v_mov_b32_e32 v20, v19
	v_cndmask_b32_e64 v2, 0, 1, s13
	;;#ASMSTART
	;;#ASMEND
	s_delay_alu instid0(VALU_DEP_1)
	v_cmp_ne_u32_e32 vcc_lo, 0, v2
	v_dual_mov_b32 v2, 0 :: v_dual_mov_b32 v21, v0
	v_mov_b32_e32 v8, v99
	s_mov_b32 s13, -1
	s_cbranch_vccnz .LBB4_964
; %bb.947:                              ;   in Loop: Header=BB4_863 Depth=3
	v_ashrrev_i32_e32 v2, 31, v19
	s_mov_b32 s14, exec_lo
	s_delay_alu instid0(VALU_DEP_1) | instskip(NEXT) | instid1(VALU_DEP_1)
	v_lshrrev_b32_e32 v2, 22, v2
	v_add_nc_u32_e32 v2, v19, v2
	s_delay_alu instid0(VALU_DEP_1) | instskip(NEXT) | instid1(VALU_DEP_1)
	v_ashrrev_i32_e32 v2, 10, v2
	v_sub_nc_u32_e32 v23, v2, v99
	s_delay_alu instid0(VALU_DEP_1)
	v_cmpx_lt_i32_e32 0, v23
	s_cbranch_execz .LBB4_952
; %bb.948:                              ;   in Loop: Header=BB4_863 Depth=3
	s_cbranch_execnz .LBB4_1860
; %bb.949:                              ;   in Loop: Header=BB4_863 Depth=3
	ds_load_b64 v[8:9], v0
	ds_load_b128 v[68:71], v0
	s_mov_b32 s15, 0
	s_waitcnt lgkmcnt(1)
	v_add_co_u32 v8, vcc_lo, v8, v130
	v_add_co_ci_u32_e32 v9, vcc_lo, v9, v131, vcc_lo
	s_waitcnt lgkmcnt(0)
	v_add_co_u32 v10, vcc_lo, v68, v130
	v_add_co_ci_u32_e32 v11, vcc_lo, v69, v131, vcc_lo
	v_add_co_u32 v13, vcc_lo, v70, v130
	v_add_co_ci_u32_e32 v14, vcc_lo, v71, v131, vcc_lo
.LBB4_950:                              ;   Parent Loop BB4_51 Depth=1
                                        ;     Parent Loop BB4_861 Depth=2
                                        ;       Parent Loop BB4_863 Depth=3
                                        ; =>      This Inner Loop Header: Depth=4
	s_clause 0x1
	global_load_b128 v[68:71], v[8:9], off slc dlc
	global_load_b128 v[80:83], v[8:9], off offset:512 slc dlc
	v_sub_nc_u32_e32 v23, v23, v97
	v_add_co_u32 v8, vcc_lo, v8, v132
	v_add_co_ci_u32_e32 v9, vcc_lo, v9, v133, vcc_lo
	s_delay_alu instid0(VALU_DEP_3)
	v_cmp_gt_i32_e32 vcc_lo, 1, v23
	s_waitcnt vmcnt(1)
	global_store_b128 v[10:11], v[68:71], off glc slc dlc
	s_waitcnt vmcnt(0)
	global_store_b128 v[10:11], v[80:83], off offset:512 glc slc dlc
	s_clause 0x1
	global_store_b128 v[13:14], v[68:71], off glc slc dlc
	global_store_b128 v[13:14], v[80:83], off offset:512 glc slc dlc
	v_add_co_u32 v10, s13, v10, v132
	s_delay_alu instid0(VALU_DEP_1) | instskip(SKIP_1) | instid1(VALU_DEP_1)
	v_add_co_ci_u32_e64 v11, s13, v11, v133, s13
	v_add_co_u32 v13, s13, v13, v132
	v_add_co_ci_u32_e64 v14, s13, v14, v133, s13
	s_or_b32 s15, vcc_lo, s15
	s_delay_alu instid0(SALU_CYCLE_1)
	s_and_not1_b32 exec_lo, exec_lo, s15
	s_cbranch_execnz .LBB4_950
; %bb.951:                              ;   in Loop: Header=BB4_863 Depth=3
	s_or_b32 exec_lo, exec_lo, s15
.LBB4_952:                              ;   in Loop: Header=BB4_863 Depth=3
	s_delay_alu instid0(SALU_CYCLE_1) | instskip(SKIP_4) | instid1(VALU_DEP_2)
	s_or_b32 exec_lo, exec_lo, s14
	v_lshlrev_b32_e32 v22, 10, v2
	v_mov_b32_e32 v2, 0
	s_mov_b32 s13, 0
	s_mov_b32 s16, exec_lo
                                        ; implicit-def: $vgpr20
                                        ; implicit-def: $vgpr21
                                        ; implicit-def: $vgpr8
	v_cmpx_ne_u32_e64 v19, v22
	s_cbranch_execz .LBB4_963
; %bb.953:                              ;   in Loop: Header=BB4_863 Depth=3
	v_lshlrev_b32_e32 v2, 5, v23
	v_sub_nc_u32_e32 v9, v19, v22
	s_mov_b32 s17, exec_lo
	s_delay_alu instid0(VALU_DEP_2) | instskip(NEXT) | instid1(VALU_DEP_2)
	v_sub_nc_u32_e32 v2, v100, v2
	v_ashrrev_i32_e32 v10, 31, v9
	s_delay_alu instid0(VALU_DEP_2) | instskip(NEXT) | instid1(VALU_DEP_2)
	v_ashrrev_i32_e32 v8, 31, v2
	v_lshrrev_b32_e32 v10, 23, v10
	s_delay_alu instid0(VALU_DEP_2) | instskip(NEXT) | instid1(VALU_DEP_2)
	v_lshrrev_b32_e32 v8, 27, v8
	v_add_nc_u32_e32 v10, v9, v10
	s_delay_alu instid0(VALU_DEP_2) | instskip(NEXT) | instid1(VALU_DEP_2)
	v_add_nc_u32_e32 v8, v2, v8
	v_and_b32_e32 v23, 0xfffffe00, v10
	v_ashrrev_i32_e32 v10, 9, v10
	s_delay_alu instid0(VALU_DEP_3) | instskip(NEXT) | instid1(VALU_DEP_3)
	v_and_b32_e32 v11, 0xffffffe0, v8
	v_sub_nc_u32_e32 v69, v9, v23
	s_delay_alu instid0(VALU_DEP_2) | instskip(SKIP_1) | instid1(VALU_DEP_3)
	v_sub_nc_u32_e32 v68, v2, v11
	v_ashrrev_i32_e32 v11, 5, v8
	v_cmp_lt_i32_e64 s13, 15, v69
	s_delay_alu instid0(VALU_DEP_3) | instskip(NEXT) | instid1(VALU_DEP_2)
	v_lshlrev_b32_e32 v2, 4, v68
	v_add_co_ci_u32_e64 v10, vcc_lo, 0, v10, s13
	s_delay_alu instid0(VALU_DEP_2) | instskip(NEXT) | instid1(VALU_DEP_2)
	v_lshl_add_u32 v8, v11, 9, v2
	v_sub_nc_u32_e32 v70, v10, v11
	s_delay_alu instid0(VALU_DEP_2) | instskip(NEXT) | instid1(VALU_DEP_1)
	v_sub_nc_u32_e32 v2, v9, v8
	v_cmpx_lt_i32_e32 15, v2
	s_cbranch_execz .LBB4_960
; %bb.954:                              ;   in Loop: Header=BB4_863 Depth=3
	s_cbranch_execnz .LBB4_1898
; %bb.955:                              ;   in Loop: Header=BB4_863 Depth=3
	ds_load_b64 v[9:10], v0
	ds_load_b128 v[80:83], v0
	v_add_nc_u32_e32 v8, v8, v22
	s_mov_b32 s42, 0
	s_delay_alu instid0(VALU_DEP_1) | instskip(SKIP_2) | instid1(VALU_DEP_2)
	v_ashrrev_i32_e32 v11, 31, v8
	s_waitcnt lgkmcnt(1)
	v_add_co_u32 v13, vcc_lo, v9, v8
	v_add_co_ci_u32_e32 v14, vcc_lo, v10, v11, vcc_lo
	s_waitcnt lgkmcnt(0)
	v_add_co_u32 v20, vcc_lo, v80, v8
	v_add_co_ci_u32_e32 v21, vcc_lo, v81, v11, vcc_lo
	v_add_co_u32 v71, vcc_lo, v82, v8
	v_add_co_ci_u32_e32 v80, vcc_lo, v83, v11, vcc_lo
.LBB4_956:                              ;   Parent Loop BB4_51 Depth=1
                                        ;     Parent Loop BB4_861 Depth=2
                                        ;       Parent Loop BB4_863 Depth=3
                                        ; =>      This Loop Header: Depth=4
                                        ;           Child Loop BB4_957 Depth 5
	global_load_b128 v[8:11], v[13:14], off slc dlc
	s_mov_b64 s[14:15], 0
	s_mov_b32 s43, -1
.LBB4_957:                              ;   Parent Loop BB4_51 Depth=1
                                        ;     Parent Loop BB4_861 Depth=2
                                        ;       Parent Loop BB4_863 Depth=3
                                        ;         Parent Loop BB4_956 Depth=4
                                        ; =>        This Inner Loop Header: Depth=5
	s_cmp_eq_u32 s14, 0
	v_cndmask_b32_e64 v83, 0, 1, s43
	s_cselect_b32 vcc_lo, -1, 0
	s_cmp_eq_u32 s14, 1
	s_mov_b32 s43, 0
	s_cselect_b32 s14, -1, 0
	s_delay_alu instid0(SALU_CYCLE_1) | instskip(SKIP_1) | instid1(VALU_DEP_2)
	v_cndmask_b32_e64 v81, v20, v71, s14
	v_cndmask_b32_e64 v82, v21, v80, s14
	v_add_co_u32 v84, s15, 0x200, v81
	s_delay_alu instid0(VALU_DEP_1) | instskip(SKIP_1) | instid1(VALU_DEP_3)
	v_add_co_ci_u32_e64 v85, s15, 0, v82, s15
	v_cmp_ne_u32_e64 s15, 1, v83
	v_cndmask_b32_e64 v71, v71, v84, s14
	v_cndmask_b32_e32 v20, v20, v84, vcc_lo
	s_delay_alu instid0(VALU_DEP_4)
	v_cndmask_b32_e64 v80, v80, v85, s14
	v_cndmask_b32_e32 v21, v21, v85, vcc_lo
	s_and_b32 vcc_lo, exec_lo, s15
	s_mov_b64 s[14:15], 1
	s_waitcnt vmcnt(0)
	global_store_b128 v[81:82], v[8:11], off glc slc dlc
	s_cbranch_vccz .LBB4_957
; %bb.958:                              ;   in Loop: Header=BB4_956 Depth=4
	v_add_co_u32 v20, vcc_lo, v20, v103
	v_sub_nc_u32_e32 v2, v2, v101
	v_add_co_ci_u32_e32 v21, vcc_lo, v21, v115, vcc_lo
	v_add_co_u32 v71, vcc_lo, v71, v103
	v_add_co_ci_u32_e32 v80, vcc_lo, v80, v115, vcc_lo
	s_delay_alu instid0(VALU_DEP_4) | instskip(SKIP_1) | instid1(VALU_DEP_1)
	v_cmp_gt_i32_e32 vcc_lo, 16, v2
	v_add_co_u32 v13, s14, v117, v13
	v_add_co_ci_u32_e64 v14, s14, v118, v14, s14
	v_sub_nc_u32_e32 v70, v70, v97
	s_or_b32 s42, vcc_lo, s42
	s_delay_alu instid0(SALU_CYCLE_1)
	s_and_not1_b32 exec_lo, exec_lo, s42
	s_cbranch_execnz .LBB4_956
; %bb.959:                              ;   in Loop: Header=BB4_863 Depth=3
	s_or_b32 exec_lo, exec_lo, s42
.LBB4_960:                              ;   in Loop: Header=BB4_863 Depth=3
	s_delay_alu instid0(SALU_CYCLE_1) | instskip(SKIP_3) | instid1(VALU_DEP_1)
	s_or_b32 exec_lo, exec_lo, s17
	v_dual_mov_b32 v2, 0 :: v_dual_and_b32 v9, 15, v19
	s_mov_b32 s14, 0
	s_mov_b32 s15, exec_lo
                                        ; implicit-def: $vgpr21
                                        ; implicit-def: $vgpr8
	v_cndmask_b32_e64 v20, v69, v9, s13
	s_delay_alu instid0(VALU_DEP_1)
	v_cmpx_ne_u32_e32 0, v20
	s_cbranch_execz .LBB4_962
; %bb.961:                              ;   in Loop: Header=BB4_863 Depth=3
	v_cmp_lt_i32_e32 vcc_lo, 0, v70
	v_sub_nc_u32_e32 v8, v69, v9
	s_mov_b32 s14, exec_lo
	v_cndmask_b32_e32 v2, 0, v97, vcc_lo
	s_delay_alu instid0(VALU_DEP_2) | instskip(NEXT) | instid1(VALU_DEP_2)
	v_cndmask_b32_e64 v8, 0, v8, s13
	v_sub_nc_u32_e32 v2, v2, v70
	s_delay_alu instid0(VALU_DEP_1) | instskip(NEXT) | instid1(VALU_DEP_1)
	v_lshl_add_u32 v21, v2, 5, v68
	v_ashrrev_i32_e32 v2, 31, v21
	s_delay_alu instid0(VALU_DEP_1) | instskip(NEXT) | instid1(VALU_DEP_1)
	v_lshrrev_b32_e32 v2, 27, v2
	v_add_nc_u32_e32 v9, v21, v2
	v_add3_u32 v2, v23, v22, v8
	s_delay_alu instid0(VALU_DEP_2)
	v_ashrrev_i32_e32 v8, 5, v9
.LBB4_962:                              ;   in Loop: Header=BB4_863 Depth=3
	s_or_b32 exec_lo, exec_lo, s15
	s_delay_alu instid0(SALU_CYCLE_1)
	s_and_b32 s13, s14, exec_lo
.LBB4_963:                              ;   in Loop: Header=BB4_863 Depth=3
	s_or_b32 exec_lo, exec_lo, s16
.LBB4_964:                              ;   in Loop: Header=BB4_863 Depth=3
	s_and_saveexec_b32 s15, s13
	s_cbranch_execz .LBB4_978
; %bb.965:                              ;   in Loop: Header=BB4_863 Depth=3
	v_ashrrev_i32_e32 v9, 31, v20
	s_mov_b32 s14, exec_lo
	s_delay_alu instid0(VALU_DEP_1) | instskip(NEXT) | instid1(VALU_DEP_1)
	v_lshrrev_b32_e32 v9, 23, v9
	v_add_nc_u32_e32 v9, v20, v9
	s_delay_alu instid0(VALU_DEP_1) | instskip(NEXT) | instid1(VALU_DEP_1)
	v_ashrrev_i32_e32 v23, 9, v9
	v_sub_nc_u32_e32 v22, v23, v8
	s_delay_alu instid0(VALU_DEP_1)
	v_cmpx_lt_i32_e32 0, v22
	s_cbranch_execz .LBB4_970
; %bb.966:                              ;   in Loop: Header=BB4_863 Depth=3
	s_cbranch_execnz .LBB4_1856
; %bb.967:                              ;   in Loop: Header=BB4_863 Depth=3
	v_ashrrev_i32_e32 v9, 31, v21
	v_lshlrev_b32_e32 v8, 9, v8
	s_mov_b32 s16, 0
	ds_load_b128 v[68:71], v0
	v_lshrrev_b32_e32 v9, 27, v9
	s_delay_alu instid0(VALU_DEP_1) | instskip(SKIP_2) | instid1(VALU_DEP_1)
	v_add_nc_u32_e32 v11, v21, v9
	ds_load_b64 v[9:10], v0
	v_and_b32_e32 v11, 0xffffffe0, v11
	v_sub_nc_u32_e32 v11, v21, v11
	s_delay_alu instid0(VALU_DEP_1) | instskip(NEXT) | instid1(VALU_DEP_1)
	v_add3_u32 v13, v2, v11, v8
	v_ashrrev_i32_e32 v14, 31, v13
	s_waitcnt lgkmcnt(0)
	v_add_co_u32 v80, vcc_lo, 0x1e0, v9
	v_add_co_ci_u32_e32 v81, vcc_lo, 0, v10, vcc_lo
	v_add_co_u32 v8, vcc_lo, v68, v13
	v_add_co_ci_u32_e32 v9, vcc_lo, v69, v14, vcc_lo
	;; [unrolled: 2-line block ×4, first 2 shown]
.LBB4_968:                              ;   Parent Loop BB4_51 Depth=1
                                        ;     Parent Loop BB4_861 Depth=2
                                        ;       Parent Loop BB4_863 Depth=3
                                        ; =>      This Inner Loop Header: Depth=4
	s_delay_alu instid0(VALU_DEP_2) | instskip(NEXT) | instid1(VALU_DEP_2)
	v_add_co_u32 v68, vcc_lo, 0xfffffe20, v13
	v_add_co_ci_u32_e32 v69, vcc_lo, -1, v14, vcc_lo
	v_add_co_u32 v70, vcc_lo, 0xfffffe40, v13
	v_add_co_ci_u32_e32 v71, vcc_lo, -1, v14, vcc_lo
	;; [unrolled: 2-line block ×15, first 2 shown]
	flat_load_u8 v151, v[13:14] slc dlc
	flat_load_u8 v68, v[68:69] slc dlc
	;; [unrolled: 1-line block ×16, first 2 shown]
	v_sub_nc_u32_e32 v22, v22, v97
	v_add_co_u32 v13, vcc_lo, v13, v117
	v_add_co_ci_u32_e32 v14, vcc_lo, v14, v118, vcc_lo
	s_delay_alu instid0(VALU_DEP_3)
	v_cmp_gt_i32_e32 vcc_lo, 1, v22
	s_waitcnt vmcnt(14) lgkmcnt(14)
	flat_store_b8 v[8:9], v68 glc slc dlc
	s_waitcnt vmcnt(13) lgkmcnt(14)
	flat_store_b8 v[8:9], v69 offset:32 glc slc dlc
	s_waitcnt vmcnt(12) lgkmcnt(14)
	flat_store_b8 v[8:9], v70 offset:64 glc slc dlc
	;; [unrolled: 2-line block ×13, first 2 shown]
	s_waitcnt vmcnt(0) lgkmcnt(14)
	s_clause 0x1
	flat_store_b8 v[8:9], v149 offset:448 glc slc dlc
	flat_store_b8 v[8:9], v151 offset:480 glc slc dlc
	s_clause 0xf
	flat_store_b8 v[10:11], v68 glc slc dlc
	flat_store_b8 v[10:11], v69 offset:32 glc slc dlc
	flat_store_b8 v[10:11], v70 offset:64 glc slc dlc
	;; [unrolled: 1-line block ×15, first 2 shown]
	v_add_co_u32 v8, s13, v8, v117
	s_delay_alu instid0(VALU_DEP_1) | instskip(SKIP_1) | instid1(VALU_DEP_1)
	v_add_co_ci_u32_e64 v9, s13, v9, v118, s13
	v_add_co_u32 v10, s13, v10, v117
	v_add_co_ci_u32_e64 v11, s13, v11, v118, s13
	s_or_b32 s16, vcc_lo, s16
	s_delay_alu instid0(SALU_CYCLE_1)
	s_and_not1_b32 exec_lo, exec_lo, s16
	s_cbranch_execnz .LBB4_968
; %bb.969:                              ;   in Loop: Header=BB4_863 Depth=3
	s_or_b32 exec_lo, exec_lo, s16
.LBB4_970:                              ;   in Loop: Header=BB4_863 Depth=3
	s_delay_alu instid0(SALU_CYCLE_1) | instskip(SKIP_2) | instid1(VALU_DEP_1)
	s_or_b32 exec_lo, exec_lo, s14
	v_lshlrev_b32_e32 v8, 9, v23
	s_mov_b32 s42, exec_lo
	v_cmpx_ne_u32_e64 v20, v8
	s_cbranch_execz .LBB4_977
; %bb.971:                              ;   in Loop: Header=BB4_863 Depth=3
	v_ashrrev_i32_e32 v9, 31, v21
	v_lshlrev_b32_e32 v10, 5, v22
	s_delay_alu instid0(VALU_DEP_2) | instskip(NEXT) | instid1(VALU_DEP_1)
	v_lshrrev_b32_e32 v9, 27, v9
	v_add_nc_u32_e32 v9, v21, v9
	s_delay_alu instid0(VALU_DEP_1) | instskip(NEXT) | instid1(VALU_DEP_1)
	v_and_b32_e32 v9, 0xffffffe0, v9
	v_sub_nc_u32_e32 v9, v21, v9
	s_delay_alu instid0(VALU_DEP_1) | instskip(NEXT) | instid1(VALU_DEP_1)
	v_sub_nc_u32_e32 v9, v9, v10
	v_add_nc_u32_e32 v8, v8, v9
	s_delay_alu instid0(VALU_DEP_1) | instskip(NEXT) | instid1(VALU_DEP_1)
	v_sub_nc_u32_e32 v10, v20, v8
	v_cmp_lt_i32_e32 vcc_lo, 0, v10
	s_and_b32 exec_lo, exec_lo, vcc_lo
	s_cbranch_execz .LBB4_977
; %bb.972:                              ;   in Loop: Header=BB4_863 Depth=3
	s_cbranch_execnz .LBB4_1892
; %bb.973:                              ;   in Loop: Header=BB4_863 Depth=3
	ds_load_b64 v[13:14], v0
	ds_load_b128 v[20:23], v0
	v_add_nc_u32_e32 v68, v8, v2
	s_mov_b32 s43, 0
	s_delay_alu instid0(VALU_DEP_1) | instskip(SKIP_2) | instid1(VALU_DEP_2)
	v_ashrrev_i32_e32 v69, 31, v68
	s_waitcnt lgkmcnt(1)
	v_add_co_u32 v8, vcc_lo, v13, v68
	v_add_co_ci_u32_e32 v9, vcc_lo, v14, v69, vcc_lo
	s_waitcnt lgkmcnt(0)
	v_add_co_u32 v2, vcc_lo, v20, v68
	v_add_co_ci_u32_e32 v11, vcc_lo, v21, v69, vcc_lo
	v_add_co_u32 v13, vcc_lo, v22, v68
	v_add_co_ci_u32_e32 v14, vcc_lo, v23, v69, vcc_lo
	s_set_inst_prefetch_distance 0x1
.LBB4_974:                              ;   Parent Loop BB4_51 Depth=1
                                        ;     Parent Loop BB4_861 Depth=2
                                        ;       Parent Loop BB4_863 Depth=3
                                        ; =>      This Loop Header: Depth=4
                                        ;           Child Loop BB4_975 Depth 5
	flat_load_u8 v20, v[8:9] slc dlc
	s_mov_b64 s[16:17], 0
	s_mov_b32 s44, -1
.LBB4_975:                              ;   Parent Loop BB4_51 Depth=1
                                        ;     Parent Loop BB4_861 Depth=2
                                        ;       Parent Loop BB4_863 Depth=3
                                        ;         Parent Loop BB4_974 Depth=4
                                        ; =>        This Inner Loop Header: Depth=5
	s_cmp_eq_u32 s16, 1
	s_cselect_b32 vcc_lo, -1, 0
	s_cmp_eq_u32 s16, 0
	v_dual_cndmask_b32 v22, v11, v14 :: v_dual_cndmask_b32 v21, v2, v13
	s_mov_b64 s[16:17], 1
	s_delay_alu instid0(VALU_DEP_1) | instskip(NEXT) | instid1(VALU_DEP_1)
	v_add_co_u32 v23, s13, v21, 32
	v_add_co_ci_u32_e64 v68, s13, 0, v22, s13
	s_cselect_b32 s13, -1, 0
	s_and_b32 s14, exec_lo, s44
	s_delay_alu instid0(VALU_DEP_1)
	v_dual_cndmask_b32 v13, v13, v23 :: v_dual_cndmask_b32 v14, v14, v68
	v_cndmask_b32_e64 v11, v11, v68, s13
	v_cndmask_b32_e64 v2, v2, v23, s13
	s_mov_b32 s44, 0
	s_mov_b32 vcc_lo, s14
	s_waitcnt vmcnt(0) lgkmcnt(0)
	flat_store_b8 v[21:22], v20 glc slc dlc
	s_cbranch_vccnz .LBB4_975
; %bb.976:                              ;   in Loop: Header=BB4_974 Depth=4
	v_add_co_u32 v2, vcc_lo, v2, v116
	v_sub_nc_u32_e32 v10, v10, v98
	v_add_co_ci_u32_e32 v11, vcc_lo, v11, v119, vcc_lo
	v_add_co_u32 v13, vcc_lo, v13, v116
	v_add_co_ci_u32_e32 v14, vcc_lo, v14, v119, vcc_lo
	s_delay_alu instid0(VALU_DEP_4) | instskip(SKIP_1) | instid1(VALU_DEP_1)
	v_cmp_gt_i32_e32 vcc_lo, 1, v10
	v_add_co_u32 v8, s13, v128, v8
	v_add_co_ci_u32_e64 v9, s13, v129, v9, s13
	s_or_b32 s43, vcc_lo, s43
	s_delay_alu instid0(SALU_CYCLE_1)
	s_and_not1_b32 exec_lo, exec_lo, s43
	s_cbranch_execnz .LBB4_974
.LBB4_977:                              ;   in Loop: Header=BB4_863 Depth=3
	s_set_inst_prefetch_distance 0x2
	s_or_b32 exec_lo, exec_lo, s42
.LBB4_978:                              ;   in Loop: Header=BB4_863 Depth=3
	s_delay_alu instid0(SALU_CYCLE_1)
	s_or_b32 exec_lo, exec_lo, s15
	s_mov_b32 s13, 0
	s_branch .LBB4_980
.LBB4_979:                              ;   in Loop: Header=BB4_863 Depth=3
	s_mov_b32 s13, -1
.LBB4_980:                              ;   in Loop: Header=BB4_863 Depth=3
	s_delay_alu instid0(SALU_CYCLE_1)
	s_and_b32 vcc_lo, exec_lo, s13
	s_cbranch_vccz .LBB4_1014
; %bb.981:                              ;   in Loop: Header=BB4_863 Depth=3
	s_mov_b32 s13, -1
	s_and_saveexec_b32 s14, s6
	s_cbranch_execz .LBB4_983
; %bb.982:                              ;   in Loop: Header=BB4_863 Depth=3
	ds_load_b32 v2, v0 offset:720
	s_waitcnt lgkmcnt(0)
	v_and_b32_e32 v2, 15, v2
	s_delay_alu instid0(VALU_DEP_1)
	v_cmp_eq_u32_e32 vcc_lo, 0, v2
	s_or_not1_b32 s13, vcc_lo, exec_lo
.LBB4_983:                              ;   in Loop: Header=BB4_863 Depth=3
	s_or_b32 exec_lo, exec_lo, s14
	s_and_saveexec_b32 s14, s5
	s_cbranch_execz .LBB4_985
; %bb.984:                              ;   in Loop: Header=BB4_863 Depth=3
	ds_load_b32 v2, v0 offset:784
	s_waitcnt lgkmcnt(0)
	v_and_b32_e32 v2, 15, v2
	s_delay_alu instid0(VALU_DEP_1) | instskip(SKIP_3) | instid1(SALU_CYCLE_1)
	v_cmp_eq_u32_e32 vcc_lo, 0, v2
	s_and_b32 s15, s13, vcc_lo
	s_and_not1_b32 s13, s13, exec_lo
	s_and_b32 s15, s15, exec_lo
	s_or_b32 s13, s13, s15
.LBB4_985:                              ;   in Loop: Header=BB4_863 Depth=3
	s_or_b32 exec_lo, exec_lo, s14
	s_xor_b32 s13, s13, -1
	v_mov_b32_e32 v14, v0
	v_cndmask_b32_e64 v2, 0, 1, s13
	;;#ASMSTART
	;;#ASMEND
	s_delay_alu instid0(VALU_DEP_1)
	v_cmp_ne_u32_e32 vcc_lo, 0, v2
	v_dual_mov_b32 v2, 0 :: v_dual_mov_b32 v13, v19
	v_mov_b32_e32 v22, v99
	s_mov_b32 s13, -1
	s_cbranch_vccnz .LBB4_1001
; %bb.986:                              ;   in Loop: Header=BB4_863 Depth=3
	v_ashrrev_i32_e32 v2, 31, v19
	s_mov_b32 s14, exec_lo
	s_delay_alu instid0(VALU_DEP_1) | instskip(NEXT) | instid1(VALU_DEP_1)
	v_lshrrev_b32_e32 v2, 21, v2
	v_add_nc_u32_e32 v2, v19, v2
	s_delay_alu instid0(VALU_DEP_1) | instskip(NEXT) | instid1(VALU_DEP_1)
	v_ashrrev_i32_e32 v2, 11, v2
	v_sub_nc_u32_e32 v20, v2, v99
	s_delay_alu instid0(VALU_DEP_1)
	v_cmpx_lt_i32_e32 0, v20
	s_cbranch_execz .LBB4_991
; %bb.987:                              ;   in Loop: Header=BB4_863 Depth=3
	s_cbranch_execnz .LBB4_1876
; %bb.988:                              ;   in Loop: Header=BB4_863 Depth=3
	ds_load_b64 v[8:9], v0
	s_mov_b32 s15, 0
	s_waitcnt lgkmcnt(0)
	v_dual_mov_b32 v11, v9 :: v_dual_mov_b32 v10, v8
	s_set_inst_prefetch_distance 0x1
.LBB4_989:                              ;   Parent Loop BB4_51 Depth=1
                                        ;     Parent Loop BB4_861 Depth=2
                                        ;       Parent Loop BB4_863 Depth=3
                                        ; =>      This Inner Loop Header: Depth=4
	s_delay_alu instid0(VALU_DEP_1) | instskip(NEXT) | instid1(VALU_DEP_2)
	v_add_co_u32 v13, vcc_lo, v102, v10
	v_add_co_ci_u32_e32 v14, vcc_lo, v112, v11, vcc_lo
	v_sub_nc_u32_e32 v20, v20, v97
	s_clause 0x3
	global_load_b128 v[68:71], v[13:14], off slc dlc
	global_load_b128 v[80:83], v[13:14], off offset:512 slc dlc
	global_load_b128 v[145:148], v[13:14], off offset:1024 slc dlc
	;; [unrolled: 1-line block ×3, first 2 shown]
	v_add_co_u32 v13, vcc_lo, v102, v8
	v_add_co_ci_u32_e32 v14, vcc_lo, v112, v9, vcc_lo
	v_add_co_u32 v10, vcc_lo, v10, v113
	v_add_co_ci_u32_e32 v11, vcc_lo, v11, v114, vcc_lo
	v_add_co_u32 v8, vcc_lo, v8, v113
	v_cmp_gt_i32_e64 s13, 1, v20
	v_add_co_ci_u32_e32 v9, vcc_lo, v9, v114, vcc_lo
	s_waitcnt vmcnt(3)
	global_store_b128 v[13:14], v[68:71], off glc slc dlc
	s_waitcnt vmcnt(2)
	global_store_b128 v[13:14], v[80:83], off offset:512 glc slc dlc
	s_waitcnt vmcnt(1)
	global_store_b128 v[13:14], v[145:148], off offset:1024 glc slc dlc
	;; [unrolled: 2-line block ×3, first 2 shown]
	s_or_b32 s15, s13, s15
	s_delay_alu instid0(SALU_CYCLE_1)
	s_and_not1_b32 exec_lo, exec_lo, s15
	s_cbranch_execnz .LBB4_989
; %bb.990:                              ;   in Loop: Header=BB4_863 Depth=3
	s_set_inst_prefetch_distance 0x2
	s_or_b32 exec_lo, exec_lo, s15
.LBB4_991:                              ;   in Loop: Header=BB4_863 Depth=3
	s_delay_alu instid0(SALU_CYCLE_1) | instskip(SKIP_4) | instid1(VALU_DEP_2)
	s_or_b32 exec_lo, exec_lo, s14
	v_lshlrev_b32_e32 v10, 11, v2
	v_mov_b32_e32 v2, 0
	s_mov_b32 s13, 0
	s_mov_b32 s15, exec_lo
                                        ; implicit-def: $vgpr13
                                        ; implicit-def: $vgpr14
                                        ; implicit-def: $vgpr22
	v_cmpx_ne_u32_e64 v19, v10
	s_cbranch_execz .LBB4_1000
; %bb.992:                              ;   in Loop: Header=BB4_863 Depth=3
	v_lshlrev_b32_e32 v2, 5, v20
	v_sub_nc_u32_e32 v9, v19, v10
	s_mov_b32 s16, exec_lo
	s_delay_alu instid0(VALU_DEP_2) | instskip(NEXT) | instid1(VALU_DEP_2)
	v_sub_nc_u32_e32 v2, v100, v2
	v_ashrrev_i32_e32 v11, 31, v9
	s_delay_alu instid0(VALU_DEP_2) | instskip(NEXT) | instid1(VALU_DEP_2)
	v_ashrrev_i32_e32 v8, 31, v2
	v_lshrrev_b32_e32 v11, 23, v11
	s_delay_alu instid0(VALU_DEP_2) | instskip(NEXT) | instid1(VALU_DEP_2)
	v_lshrrev_b32_e32 v8, 27, v8
	v_add_nc_u32_e32 v14, v9, v11
	s_delay_alu instid0(VALU_DEP_2) | instskip(NEXT) | instid1(VALU_DEP_2)
	v_add_nc_u32_e32 v8, v2, v8
	v_and_b32_e32 v11, 0xfffffe00, v14
	v_ashrrev_i32_e32 v14, 9, v14
	s_delay_alu instid0(VALU_DEP_3) | instskip(NEXT) | instid1(VALU_DEP_3)
	v_and_b32_e32 v13, 0xffffffe0, v8
	v_sub_nc_u32_e32 v21, v9, v11
	v_ashrrev_i32_e32 v8, 5, v8
	s_delay_alu instid0(VALU_DEP_3) | instskip(NEXT) | instid1(VALU_DEP_3)
	v_sub_nc_u32_e32 v20, v2, v13
	v_cmp_lt_i32_e32 vcc_lo, 15, v21
	s_delay_alu instid0(VALU_DEP_2) | instskip(SKIP_1) | instid1(VALU_DEP_2)
	v_lshlrev_b32_e32 v2, 4, v20
	v_add_co_ci_u32_e64 v14, s13, 0, v14, vcc_lo
	v_lshl_add_u32 v13, v8, 9, v2
	s_delay_alu instid0(VALU_DEP_2) | instskip(NEXT) | instid1(VALU_DEP_2)
	v_sub_nc_u32_e32 v23, v14, v8
	v_sub_nc_u32_e32 v2, v9, v13
	s_delay_alu instid0(VALU_DEP_1)
	v_cmpx_lt_i32_e32 15, v2
	s_cbranch_execz .LBB4_997
; %bb.993:                              ;   in Loop: Header=BB4_863 Depth=3
	s_cbranch_execnz .LBB4_1906
; %bb.994:                              ;   in Loop: Header=BB4_863 Depth=3
	ds_load_b64 v[8:9], v0
	v_add_nc_u32_e32 v13, v13, v10
	s_mov_b32 s17, 0
	s_delay_alu instid0(VALU_DEP_1)
	v_ashrrev_i32_e32 v14, 31, v13
.LBB4_995:                              ;   Parent Loop BB4_51 Depth=1
                                        ;     Parent Loop BB4_861 Depth=2
                                        ;       Parent Loop BB4_863 Depth=3
                                        ; =>      This Inner Loop Header: Depth=4
	s_waitcnt lgkmcnt(0)
	v_add_co_u32 v80, s13, v8, v13
	s_delay_alu instid0(VALU_DEP_1)
	v_add_co_ci_u32_e64 v81, s13, v9, v14, s13
	v_sub_nc_u32_e32 v2, v2, v101
	v_add_co_u32 v13, s14, v13, v117
	global_load_b128 v[68:71], v[80:81], off slc dlc
	v_sub_nc_u32_e32 v23, v23, v97
	v_cmp_gt_i32_e64 s13, 16, v2
	v_add_co_ci_u32_e64 v14, s14, v14, v118, s14
	s_delay_alu instid0(VALU_DEP_2)
	s_or_b32 s17, s13, s17
	s_waitcnt vmcnt(0)
	global_store_b128 v[80:81], v[68:71], off glc slc dlc
	s_and_not1_b32 exec_lo, exec_lo, s17
	s_cbranch_execnz .LBB4_995
; %bb.996:                              ;   in Loop: Header=BB4_863 Depth=3
	s_or_b32 exec_lo, exec_lo, s17
.LBB4_997:                              ;   in Loop: Header=BB4_863 Depth=3
	s_delay_alu instid0(SALU_CYCLE_1) | instskip(SKIP_3) | instid1(VALU_DEP_1)
	s_or_b32 exec_lo, exec_lo, s16
	v_and_b32_e32 v8, 15, v19
	s_mov_b32 s14, 0
	s_mov_b32 s16, exec_lo
                                        ; implicit-def: $vgpr14
                                        ; implicit-def: $vgpr22
	v_dual_mov_b32 v2, 0 :: v_dual_cndmask_b32 v13, v21, v8
	s_delay_alu instid0(VALU_DEP_1)
	v_cmpx_ne_u32_e32 0, v13
; %bb.998:                              ;   in Loop: Header=BB4_863 Depth=3
	v_cmp_lt_i32_e64 s13, 0, v23
	v_sub_nc_u32_e32 v8, v21, v8
	s_mov_b32 s14, exec_lo
	s_delay_alu instid0(VALU_DEP_2) | instskip(NEXT) | instid1(VALU_DEP_1)
	v_cndmask_b32_e64 v2, 0, v97, s13
	v_sub_nc_u32_e32 v2, v2, v23
	s_delay_alu instid0(VALU_DEP_1) | instskip(NEXT) | instid1(VALU_DEP_1)
	v_lshl_add_u32 v14, v2, 5, v20
	v_ashrrev_i32_e32 v2, 31, v14
	s_delay_alu instid0(VALU_DEP_1) | instskip(NEXT) | instid1(VALU_DEP_1)
	v_lshrrev_b32_e32 v2, 27, v2
	v_dual_cndmask_b32 v8, 0, v8 :: v_dual_add_nc_u32 v9, v14, v2
	s_delay_alu instid0(VALU_DEP_1) | instskip(NEXT) | instid1(VALU_DEP_2)
	v_add3_u32 v2, v11, v10, v8
	v_ashrrev_i32_e32 v22, 5, v9
; %bb.999:                              ;   in Loop: Header=BB4_863 Depth=3
	s_or_b32 exec_lo, exec_lo, s16
	s_delay_alu instid0(SALU_CYCLE_1)
	s_and_b32 s13, s14, exec_lo
.LBB4_1000:                             ;   in Loop: Header=BB4_863 Depth=3
	s_or_b32 exec_lo, exec_lo, s15
.LBB4_1001:                             ;   in Loop: Header=BB4_863 Depth=3
	s_and_saveexec_b32 s14, s13
	s_cbranch_execz .LBB4_1013
; %bb.1002:                             ;   in Loop: Header=BB4_863 Depth=3
	v_ashrrev_i32_e32 v8, 31, v13
	s_mov_b32 s13, exec_lo
	s_delay_alu instid0(VALU_DEP_1) | instskip(NEXT) | instid1(VALU_DEP_1)
	v_lshrrev_b32_e32 v8, 23, v8
	v_add_nc_u32_e32 v8, v13, v8
	s_delay_alu instid0(VALU_DEP_1) | instskip(NEXT) | instid1(VALU_DEP_1)
	v_ashrrev_i32_e32 v21, 9, v8
	v_sub_nc_u32_e32 v20, v21, v22
	s_delay_alu instid0(VALU_DEP_1)
	v_cmpx_lt_i32_e32 0, v20
	s_cbranch_execz .LBB4_1007
; %bb.1003:                             ;   in Loop: Header=BB4_863 Depth=3
	s_cbranch_execnz .LBB4_1866
; %bb.1004:                             ;   in Loop: Header=BB4_863 Depth=3
	v_ashrrev_i32_e32 v8, 31, v14
	s_mov_b32 s15, 0
	s_delay_alu instid0(VALU_DEP_1) | instskip(NEXT) | instid1(VALU_DEP_1)
	v_lshrrev_b32_e32 v8, 27, v8
	v_add_nc_u32_e32 v10, v14, v8
	ds_load_b64 v[8:9], v0
	v_lshlrev_b32_e32 v11, 9, v22
	v_and_b32_e32 v10, 0xffffffe0, v10
	s_delay_alu instid0(VALU_DEP_1) | instskip(NEXT) | instid1(VALU_DEP_1)
	v_sub_nc_u32_e32 v10, v14, v10
	v_add3_u32 v22, v2, v10, v11
	s_delay_alu instid0(VALU_DEP_1)
	v_ashrrev_i32_e32 v23, 31, v22
	s_waitcnt lgkmcnt(0)
	v_dual_mov_b32 v11, v9 :: v_dual_mov_b32 v10, v8
.LBB4_1005:                             ;   Parent Loop BB4_51 Depth=1
                                        ;     Parent Loop BB4_861 Depth=2
                                        ;       Parent Loop BB4_863 Depth=3
                                        ; =>      This Inner Loop Header: Depth=4
	s_delay_alu instid0(VALU_DEP_1) | instskip(NEXT) | instid1(VALU_DEP_2)
	v_add_co_u32 v68, vcc_lo, v22, v10
	v_add_co_ci_u32_e32 v69, vcc_lo, v23, v11, vcc_lo
	v_sub_nc_u32_e32 v20, v20, v97
	s_clause 0xf
	flat_load_u8 v70, v[68:69] slc dlc
	flat_load_u8 v71, v[68:69] offset:32 slc dlc
	flat_load_u8 v80, v[68:69] offset:64 slc dlc
	;; [unrolled: 1-line block ×15, first 2 shown]
	v_add_co_u32 v68, vcc_lo, v22, v8
	v_add_co_ci_u32_e32 v69, vcc_lo, v23, v9, vcc_lo
	v_add_co_u32 v10, vcc_lo, v10, v117
	v_add_co_ci_u32_e32 v11, vcc_lo, v11, v118, vcc_lo
	v_add_co_u32 v8, vcc_lo, v8, v117
	v_add_co_ci_u32_e32 v9, vcc_lo, v9, v118, vcc_lo
	v_cmp_gt_i32_e32 vcc_lo, 1, v20
	s_waitcnt vmcnt(15) lgkmcnt(15)
	flat_store_b8 v[68:69], v70 glc slc dlc
	s_waitcnt vmcnt(14) lgkmcnt(15)
	flat_store_b8 v[68:69], v71 offset:32 glc slc dlc
	s_waitcnt vmcnt(13) lgkmcnt(15)
	flat_store_b8 v[68:69], v80 offset:64 glc slc dlc
	;; [unrolled: 2-line block ×15, first 2 shown]
	s_or_b32 s15, vcc_lo, s15
	s_delay_alu instid0(SALU_CYCLE_1)
	s_and_not1_b32 exec_lo, exec_lo, s15
	s_cbranch_execnz .LBB4_1005
; %bb.1006:                             ;   in Loop: Header=BB4_863 Depth=3
	s_or_b32 exec_lo, exec_lo, s15
.LBB4_1007:                             ;   in Loop: Header=BB4_863 Depth=3
	s_delay_alu instid0(SALU_CYCLE_1) | instskip(SKIP_2) | instid1(VALU_DEP_1)
	s_or_b32 exec_lo, exec_lo, s13
	v_lshlrev_b32_e32 v8, 9, v21
	s_mov_b32 s15, exec_lo
	v_cmpx_ne_u32_e64 v13, v8
	s_cbranch_execz .LBB4_1012
; %bb.1008:                             ;   in Loop: Header=BB4_863 Depth=3
	v_ashrrev_i32_e32 v9, 31, v14
	v_lshlrev_b32_e32 v10, 5, v20
	s_delay_alu instid0(VALU_DEP_2) | instskip(NEXT) | instid1(VALU_DEP_1)
	v_lshrrev_b32_e32 v9, 27, v9
	v_add_nc_u32_e32 v9, v14, v9
	s_delay_alu instid0(VALU_DEP_1) | instskip(NEXT) | instid1(VALU_DEP_1)
	v_and_b32_e32 v9, 0xffffffe0, v9
	v_sub_nc_u32_e32 v9, v14, v9
	s_delay_alu instid0(VALU_DEP_1) | instskip(NEXT) | instid1(VALU_DEP_1)
	v_sub_nc_u32_e32 v9, v9, v10
	v_add_nc_u32_e32 v11, v8, v9
	s_delay_alu instid0(VALU_DEP_1) | instskip(NEXT) | instid1(VALU_DEP_1)
	v_sub_nc_u32_e32 v10, v13, v11
	v_cmp_lt_i32_e32 vcc_lo, 0, v10
	s_and_b32 exec_lo, exec_lo, vcc_lo
	s_cbranch_execz .LBB4_1012
; %bb.1009:                             ;   in Loop: Header=BB4_863 Depth=3
	s_cbranch_execnz .LBB4_1902
; %bb.1010:                             ;   in Loop: Header=BB4_863 Depth=3
	ds_load_b64 v[8:9], v0
	v_add_nc_u32_e32 v2, v11, v2
	s_mov_b32 s16, 0
	s_delay_alu instid0(VALU_DEP_1)
	v_ashrrev_i32_e32 v11, 31, v2
.LBB4_1011:                             ;   Parent Loop BB4_51 Depth=1
                                        ;     Parent Loop BB4_861 Depth=2
                                        ;       Parent Loop BB4_863 Depth=3
                                        ; =>      This Inner Loop Header: Depth=4
	s_waitcnt lgkmcnt(0)
	v_add_co_u32 v13, vcc_lo, v8, v2
	s_delay_alu instid0(VALU_DEP_2)
	v_add_co_ci_u32_e32 v14, vcc_lo, v9, v11, vcc_lo
	v_sub_nc_u32_e32 v10, v10, v98
	v_add_co_u32 v2, s13, v2, v128
	flat_load_u8 v20, v[13:14] slc dlc
	v_add_co_ci_u32_e64 v11, s13, v11, v129, s13
	v_cmp_gt_i32_e32 vcc_lo, 1, v10
	s_or_b32 s16, vcc_lo, s16
	s_waitcnt vmcnt(0) lgkmcnt(0)
	flat_store_b8 v[13:14], v20 glc slc dlc
	s_and_not1_b32 exec_lo, exec_lo, s16
	s_cbranch_execnz .LBB4_1011
.LBB4_1012:                             ;   in Loop: Header=BB4_863 Depth=3
	s_or_b32 exec_lo, exec_lo, s15
.LBB4_1013:                             ;   in Loop: Header=BB4_863 Depth=3
	s_delay_alu instid0(SALU_CYCLE_1)
	s_or_b32 exec_lo, exec_lo, s14
.LBB4_1014:                             ;   in Loop: Header=BB4_863 Depth=3
	s_and_saveexec_b32 s13, s3
	s_cbranch_execz .LBB4_1036
; %bb.1015:                             ;   in Loop: Header=BB4_863 Depth=3
	s_and_saveexec_b32 s14, s4
	s_delay_alu instid0(SALU_CYCLE_1)
	s_xor_b32 s14, exec_lo, s14
	s_cbranch_execz .LBB4_1033
; %bb.1016:                             ;   in Loop: Header=BB4_863 Depth=3
	s_and_saveexec_b32 s15, s1
	s_cbranch_execz .LBB4_1032
; %bb.1017:                             ;   in Loop: Header=BB4_863 Depth=3
	s_mov_b32 s17, exec_lo
	s_mov_b32 s16, exec_lo
	v_mbcnt_lo_u32_b32 v2, s17, 0
	s_waitcnt lgkmcnt(0)
	s_waitcnt_vscnt null, 0x0
	buffer_gl1_inv
	buffer_gl0_inv
	v_cmpx_eq_u32_e32 0, v2
	s_cbranch_execz .LBB4_1019
; %bb.1018:                             ;   in Loop: Header=BB4_863 Depth=3
	s_bcnt1_i32_b32 s17, s17
	s_delay_alu instid0(SALU_CYCLE_1)
	v_mov_b32_e32 v2, s17
	ds_add_u64 v0, v[2:3]
	s_cbranch_execnz .LBB4_1850
.LBB4_1019:                             ;   in Loop: Header=BB4_863 Depth=3
	s_or_b32 exec_lo, exec_lo, s16
	s_cbranch_execnz .LBB4_1828
; %bb.1020:                             ;   in Loop: Header=BB4_863 Depth=3
	ds_load_b64 v[8:9], v0
	v_add_co_u32 v48, vcc_lo, v48, v97
	v_add_co_ci_u32_e32 v49, vcc_lo, 0, v49, vcc_lo
	s_mov_b32 s16, exec_lo
	s_waitcnt lgkmcnt(0)
	s_delay_alu instid0(VALU_DEP_1)
	v_cmpx_lt_u64_e64 v[8:9], v[48:49]
	s_cbranch_execz .LBB4_1031
; %bb.1021:                             ;   in Loop: Header=BB4_863 Depth=3
	s_mov_b32 s17, 0
	s_mov_b32 s44, 0
                                        ; implicit-def: $sgpr42
                                        ; implicit-def: $sgpr43
	s_branch .LBB4_1023
.LBB4_1022:                             ;   in Loop: Header=BB4_1023 Depth=4
	s_or_b32 exec_lo, exec_lo, s46
	s_delay_alu instid0(SALU_CYCLE_1) | instskip(NEXT) | instid1(SALU_CYCLE_1)
	s_and_b32 vcc_lo, exec_lo, vcc_lo
	s_or_b32 s17, vcc_lo, s17
	s_and_not1_b32 vcc_lo, s42, exec_lo
	s_and_b32 s42, s43, exec_lo
	s_delay_alu instid0(SALU_CYCLE_1)
	s_or_b32 s42, vcc_lo, s42
	s_and_not1_b32 exec_lo, exec_lo, s17
	s_cbranch_execz .LBB4_1029
.LBB4_1023:                             ;   Parent Loop BB4_51 Depth=1
                                        ;     Parent Loop BB4_861 Depth=2
                                        ;       Parent Loop BB4_863 Depth=3
                                        ; =>      This Inner Loop Header: Depth=4
	s_add_i32 s44, s44, 1
                                        ; implicit-def: $sgpr46
	s_delay_alu instid0(SALU_CYCLE_1) | instskip(SKIP_1) | instid1(SALU_CYCLE_1)
	s_cmpk_lg_i32 s44, 0x2710
	s_cselect_b32 s45, -1, 0
	s_and_b32 vcc_lo, exec_lo, s45
	s_cbranch_vccz .LBB4_1027
.LBB4_1024:                             ;   in Loop: Header=BB4_1023 Depth=4
	s_and_not1_b32 s43, s43, exec_lo
	s_and_b32 s46, s46, exec_lo
	s_mov_b32 vcc_lo, -1
	s_or_b32 s43, s43, s46
	s_and_saveexec_b32 s46, s45
	s_cbranch_execz .LBB4_1022
; %bb.1025:                             ;   in Loop: Header=BB4_1023 Depth=4
	s_sleep 1
	s_cbranch_execnz .LBB4_1882
; %bb.1026:                             ;   in Loop: Header=BB4_1023 Depth=4
	ds_load_b64 v[8:9], v0
	s_and_not1_b32 s43, s43, exec_lo
	s_waitcnt lgkmcnt(0)
	v_cmp_ge_u64_e32 vcc_lo, v[8:9], v[48:49]
	s_or_not1_b32 vcc_lo, vcc_lo, exec_lo
	s_branch .LBB4_1022
.LBB4_1027:                             ;   in Loop: Header=BB4_1023 Depth=4
	s_cbranch_execnz .LBB4_1890
; %bb.1028:                             ;   in Loop: Header=BB4_1023 Depth=4
	ds_load_b64 v[8:9], v0
	s_and_not1_b32 s45, s45, exec_lo
	s_mov_b32 s44, 0
	s_mov_b32 s46, -1
	s_waitcnt lgkmcnt(0)
	flat_load_b32 v2, v[8:9] glc
	s_waitcnt vmcnt(0) lgkmcnt(0)
	buffer_gl1_inv
	buffer_gl0_inv
	v_cmp_eq_u32_e32 vcc_lo, 0, v2
	s_and_b32 vcc_lo, vcc_lo, exec_lo
	s_delay_alu instid0(SALU_CYCLE_1)
	s_or_b32 s45, s45, vcc_lo
	s_branch .LBB4_1024
.LBB4_1029:                             ;   in Loop: Header=BB4_863 Depth=3
	s_or_b32 exec_lo, exec_lo, s17
	s_and_saveexec_b32 s17, s42
	s_delay_alu instid0(SALU_CYCLE_1)
	s_xor_b32 s17, exec_lo, s17
	s_cbranch_execz .LBB4_1031
; %bb.1030:                             ;   in Loop: Header=BB4_863 Depth=3
	ds_store_b32 v0, v134
	s_cbranch_execnz .LBB4_1936
.LBB4_1031:                             ;   in Loop: Header=BB4_863 Depth=3
	s_or_b32 exec_lo, exec_lo, s16
	;;#ASMSTART
	s_wakeup
	;;#ASMEND
.LBB4_1032:                             ;   in Loop: Header=BB4_863 Depth=3
	s_or_b32 exec_lo, exec_lo, s15
.LBB4_1033:                             ;   in Loop: Header=BB4_863 Depth=3
	s_and_not1_saveexec_b32 s14, s14
	s_cbranch_execz .LBB4_1035
; %bb.1034:                             ;   in Loop: Header=BB4_863 Depth=3
	s_waitcnt lgkmcnt(0)
	s_waitcnt_vscnt null, 0x0
	buffer_gl1_inv
	buffer_gl0_inv
	s_barrier
.LBB4_1035:                             ;   in Loop: Header=BB4_863 Depth=3
	s_or_b32 exec_lo, exec_lo, s14
.LBB4_1036:                             ;   in Loop: Header=BB4_863 Depth=3
	s_delay_alu instid0(SALU_CYCLE_1) | instskip(SKIP_1) | instid1(SALU_CYCLE_1)
	s_or_b32 exec_lo, exec_lo, s13
                                        ; implicit-def: $vgpr2
	s_and_saveexec_b32 s13, s7
	s_xor_b32 s14, exec_lo, s13
	s_cbranch_execz .LBB4_1040
; %bb.1037:                             ;   in Loop: Header=BB4_863 Depth=3
	v_and_b32_e32 v2, 16, v30
	v_cmp_lt_i32_e32 vcc_lo, 0, v19
	s_delay_alu instid0(VALU_DEP_2) | instskip(SKIP_1) | instid1(VALU_DEP_2)
	v_cmp_ne_u32_e64 s13, 0, v2
	v_and_b32_e32 v2, 16, v30
	s_and_b32 s15, s13, vcc_lo
	s_delay_alu instid0(SALU_CYCLE_1)
	s_and_saveexec_b32 s13, s15
	s_cbranch_execz .LBB4_1039
; %bb.1038:                             ;   in Loop: Header=BB4_863 Depth=3
	v_mov_b32_e32 v2, 1
	s_waitcnt lgkmcnt(0)
	s_waitcnt_vscnt null, 0x0
	buffer_gl1_inv
	buffer_gl0_inv
.LBB4_1039:                             ;   in Loop: Header=BB4_863 Depth=3
	s_or_b32 exec_lo, exec_lo, s13
.LBB4_1040:                             ;   in Loop: Header=BB4_863 Depth=3
	s_and_not1_saveexec_b32 s13, s14
	s_cbranch_execz .LBB4_1062
; %bb.1041:                             ;   in Loop: Header=BB4_863 Depth=3
	s_and_saveexec_b32 s14, s4
	s_delay_alu instid0(SALU_CYCLE_1)
	s_xor_b32 s14, exec_lo, s14
	s_cbranch_execz .LBB4_1059
; %bb.1042:                             ;   in Loop: Header=BB4_863 Depth=3
	s_and_saveexec_b32 s15, s1
	s_cbranch_execz .LBB4_1058
; %bb.1043:                             ;   in Loop: Header=BB4_863 Depth=3
	s_mov_b32 s17, exec_lo
	s_mov_b32 s16, exec_lo
	v_mbcnt_lo_u32_b32 v2, s17, 0
	;;#ASMSTART
	s_waitcnt lgkmcnt(0) vmcnt(0)
	;;#ASMEND
	s_delay_alu instid0(VALU_DEP_1)
	v_cmpx_eq_u32_e32 0, v2
	s_cbranch_execz .LBB4_1045
; %bb.1044:                             ;   in Loop: Header=BB4_863 Depth=3
	s_bcnt1_i32_b32 s17, s17
	s_delay_alu instid0(SALU_CYCLE_1)
	v_mov_b32_e32 v2, s17
	ds_add_u64 v0, v[2:3]
	s_cbranch_execnz .LBB4_1852
.LBB4_1045:                             ;   in Loop: Header=BB4_863 Depth=3
	s_or_b32 exec_lo, exec_lo, s16
	s_cbranch_execnz .LBB4_1832
; %bb.1046:                             ;   in Loop: Header=BB4_863 Depth=3
	ds_load_b64 v[8:9], v0
	v_add_co_u32 v48, vcc_lo, v48, v97
	v_add_co_ci_u32_e32 v49, vcc_lo, 0, v49, vcc_lo
	s_mov_b32 s16, exec_lo
	s_waitcnt lgkmcnt(0)
	s_delay_alu instid0(VALU_DEP_1)
	v_cmpx_lt_u64_e64 v[8:9], v[48:49]
	s_cbranch_execz .LBB4_1057
; %bb.1047:                             ;   in Loop: Header=BB4_863 Depth=3
	s_mov_b32 s17, 0
	s_mov_b32 s44, 0
                                        ; implicit-def: $sgpr42
                                        ; implicit-def: $sgpr43
	s_branch .LBB4_1049
.LBB4_1048:                             ;   in Loop: Header=BB4_1049 Depth=4
	s_or_b32 exec_lo, exec_lo, s46
	s_delay_alu instid0(SALU_CYCLE_1) | instskip(NEXT) | instid1(SALU_CYCLE_1)
	s_and_b32 vcc_lo, exec_lo, vcc_lo
	s_or_b32 s17, vcc_lo, s17
	s_and_not1_b32 vcc_lo, s42, exec_lo
	s_and_b32 s42, s43, exec_lo
	s_delay_alu instid0(SALU_CYCLE_1)
	s_or_b32 s42, vcc_lo, s42
	s_and_not1_b32 exec_lo, exec_lo, s17
	s_cbranch_execz .LBB4_1055
.LBB4_1049:                             ;   Parent Loop BB4_51 Depth=1
                                        ;     Parent Loop BB4_861 Depth=2
                                        ;       Parent Loop BB4_863 Depth=3
                                        ; =>      This Inner Loop Header: Depth=4
	s_add_i32 s44, s44, 1
                                        ; implicit-def: $sgpr46
	s_delay_alu instid0(SALU_CYCLE_1) | instskip(SKIP_1) | instid1(SALU_CYCLE_1)
	s_cmpk_lg_i32 s44, 0x2710
	s_cselect_b32 s45, -1, 0
	s_and_b32 vcc_lo, exec_lo, s45
	s_cbranch_vccnz .LBB4_1052
; %bb.1050:                             ;   in Loop: Header=BB4_1049 Depth=4
	s_cbranch_execnz .LBB4_1894
; %bb.1051:                             ;   in Loop: Header=BB4_1049 Depth=4
	ds_load_b64 v[8:9], v0
	s_and_not1_b32 s45, s45, exec_lo
	s_mov_b32 s44, 0
	s_mov_b32 s46, -1
	s_waitcnt lgkmcnt(0)
	s_waitcnt_vscnt null, 0x0
	flat_load_b32 v2, v[8:9] glc
	s_waitcnt vmcnt(0) lgkmcnt(0)
	buffer_gl1_inv
	buffer_gl0_inv
	v_cmp_eq_u32_e32 vcc_lo, 0, v2
	s_and_b32 vcc_lo, vcc_lo, exec_lo
	s_delay_alu instid0(SALU_CYCLE_1)
	s_or_b32 s45, s45, vcc_lo
.LBB4_1052:                             ;   in Loop: Header=BB4_1049 Depth=4
	s_and_not1_b32 s43, s43, exec_lo
	s_and_b32 s46, s46, exec_lo
	s_mov_b32 vcc_lo, -1
	s_or_b32 s43, s43, s46
	s_and_saveexec_b32 s46, s45
	s_cbranch_execz .LBB4_1048
; %bb.1053:                             ;   in Loop: Header=BB4_1049 Depth=4
	s_sleep 1
	s_cbranch_execnz .LBB4_1888
; %bb.1054:                             ;   in Loop: Header=BB4_1049 Depth=4
	ds_load_b64 v[8:9], v0
	s_and_not1_b32 s43, s43, exec_lo
	s_waitcnt lgkmcnt(0)
	v_cmp_ge_u64_e32 vcc_lo, v[8:9], v[48:49]
	s_or_not1_b32 vcc_lo, vcc_lo, exec_lo
	s_branch .LBB4_1048
.LBB4_1055:                             ;   in Loop: Header=BB4_863 Depth=3
	s_or_b32 exec_lo, exec_lo, s17
	s_and_saveexec_b32 s17, s42
	s_delay_alu instid0(SALU_CYCLE_1)
	s_xor_b32 s17, exec_lo, s17
	s_cbranch_execz .LBB4_1057
; %bb.1056:                             ;   in Loop: Header=BB4_863 Depth=3
	ds_store_b32 v0, v134
	s_cbranch_execnz .LBB4_1938
.LBB4_1057:                             ;   in Loop: Header=BB4_863 Depth=3
	s_or_b32 exec_lo, exec_lo, s16
	;;#ASMSTART
	s_wakeup
	;;#ASMEND
.LBB4_1058:                             ;   in Loop: Header=BB4_863 Depth=3
	s_or_b32 exec_lo, exec_lo, s15
.LBB4_1059:                             ;   in Loop: Header=BB4_863 Depth=3
	s_and_not1_saveexec_b32 s14, s14
	s_cbranch_execz .LBB4_1061
; %bb.1060:                             ;   in Loop: Header=BB4_863 Depth=3
	;;#ASMSTART
	s_waitcnt lgkmcnt(0) vmcnt(0)
	;;#ASMEND
	s_waitcnt lgkmcnt(0)
	s_waitcnt_vscnt null, 0x0
	s_barrier
.LBB4_1061:                             ;   in Loop: Header=BB4_863 Depth=3
	s_or_b32 exec_lo, exec_lo, s14
	v_and_b32_e32 v2, 16, v30
.LBB4_1062:                             ;   in Loop: Header=BB4_863 Depth=3
	s_or_b32 exec_lo, exec_lo, s13
	s_delay_alu instid0(VALU_DEP_1) | instskip(SKIP_1) | instid1(SALU_CYCLE_1)
	v_cmp_ne_u32_e32 vcc_lo, 0, v2
	s_xor_b32 s13, s10, -1
	s_and_b32 s14, vcc_lo, s13
	s_delay_alu instid0(SALU_CYCLE_1)
	s_and_saveexec_b32 s13, s14
	s_cbranch_execz .LBB4_1064
; %bb.1063:                             ;   in Loop: Header=BB4_863 Depth=3
	s_waitcnt lgkmcnt(0)
	s_waitcnt_vscnt null, 0x0
	flat_store_b32 v[38:39], v134
.LBB4_1064:                             ;   in Loop: Header=BB4_863 Depth=3
	s_or_b32 exec_lo, exec_lo, s13
	v_and_b32_e32 v2, 48, v30
	s_mov_b32 s13, exec_lo
	s_delay_alu instid0(VALU_DEP_1)
	v_cmpx_ne_u32_e32 0, v2
	s_cbranch_execz .LBB4_1066
; %bb.1065:                             ;   in Loop: Header=BB4_863 Depth=3
	v_add_co_u32 v34, vcc_lo, v34, 2
	v_add_co_ci_u32_e32 v35, vcc_lo, 0, v35, vcc_lo
	s_waitcnt lgkmcnt(0)
	s_waitcnt_vscnt null, 0x0
	flat_store_b64 v[32:33], v[34:35]
.LBB4_1066:                             ;   in Loop: Header=BB4_863 Depth=3
	s_or_b32 exec_lo, exec_lo, s13
	v_add_nc_u32_e32 v16, v12, v16
	s_xor_b32 s13, s40, -1
	v_mov_b32_e32 v2, s41
	s_mov_b32 s40, 0
	s_mov_b32 s41, 2
	v_cmp_ge_i32_e32 vcc_lo, v16, v15
	s_or_b32 s13, s13, vcc_lo
	s_delay_alu instid0(SALU_CYCLE_1) | instskip(NEXT) | instid1(SALU_CYCLE_1)
	s_and_b32 s13, exec_lo, s13
	s_or_b32 s39, s13, s39
	s_delay_alu instid0(SALU_CYCLE_1)
	s_and_not1_b32 exec_lo, exec_lo, s39
	s_cbranch_execnz .LBB4_863
; %bb.1067:                             ;   in Loop: Header=BB4_861 Depth=2
	s_or_b32 exec_lo, exec_lo, s39
.LBB4_1068:                             ;   in Loop: Header=BB4_861 Depth=2
	s_delay_alu instid0(SALU_CYCLE_1) | instskip(NEXT) | instid1(SALU_CYCLE_1)
	s_or_b32 exec_lo, exec_lo, s38
	s_mov_b32 s14, exec_lo
	v_cmpx_gt_i32_e32 2, v2
	s_cbranch_execz .LBB4_1152
; %bb.1069:                             ;   in Loop: Header=BB4_861 Depth=2
	v_cmp_eq_u32_e64 s13, 0, v2
	s_mov_b32 s15, 0
.LBB4_1070:                             ;   Parent Loop BB4_51 Depth=1
                                        ;     Parent Loop BB4_861 Depth=2
                                        ; =>    This Loop Header: Depth=3
                                        ;         Child Loop BB4_1076 Depth 4
                                        ;         Child Loop BB4_1106 Depth 4
	;; [unrolled: 1-line block ×3, first 2 shown]
	v_and_b32_e32 v2, 12, v30
	s_mov_b32 s17, -1
	s_mov_b32 s16, exec_lo
	s_delay_alu instid0(VALU_DEP_1)
	v_cmpx_ne_u32_e32 0, v2
	s_cbranch_execz .LBB4_1084
; %bb.1071:                             ;   in Loop: Header=BB4_1070 Depth=3
	v_and_b32_e32 v2, 8, v30
	s_delay_alu instid0(VALU_DEP_1) | instskip(SKIP_3) | instid1(VALU_DEP_1)
	v_add_co_u32 v10, vcc_lo, v50, v2
	v_add_co_ci_u32_e32 v11, vcc_lo, 0, v51, vcc_lo
	v_add_co_u32 v8, vcc_lo, v34, 2
	v_add_co_ci_u32_e32 v9, vcc_lo, 0, v35, vcc_lo
	v_cmp_lt_u64_e32 vcc_lo, v[10:11], v[8:9]
	v_mov_b32_e32 v10, 1
	s_and_saveexec_b32 s17, vcc_lo
	s_cbranch_execz .LBB4_1083
; %bb.1072:                             ;   in Loop: Header=BB4_1070 Depth=3
	v_mov_b32_e32 v10, 0
	s_mov_b32 s38, 0
                                        ; implicit-def: $sgpr39
	s_branch .LBB4_1076
.LBB4_1073:                             ;   in Loop: Header=BB4_1076 Depth=4
	s_or_b32 exec_lo, exec_lo, s43
	v_mov_b32_e32 v11, 0
	s_or_not1_b32 s42, s42, exec_lo
.LBB4_1074:                             ;   in Loop: Header=BB4_1076 Depth=4
	s_or_b32 exec_lo, exec_lo, s41
	s_delay_alu instid0(VALU_DEP_1) | instskip(SKIP_2) | instid1(SALU_CYCLE_1)
	v_mov_b32_e32 v10, v11
	s_and_not1_b32 vcc_lo, s39, exec_lo
	s_and_b32 s39, s42, exec_lo
	s_or_b32 s39, vcc_lo, s39
.LBB4_1075:                             ;   in Loop: Header=BB4_1076 Depth=4
	s_or_b32 exec_lo, exec_lo, s40
	s_waitcnt vmcnt(0) lgkmcnt(0)
	v_add_co_u32 v13, vcc_lo, v50, v2
	v_add_co_ci_u32_e32 v14, vcc_lo, 0, v51, vcc_lo
	s_xor_b32 s40, s39, -1
	s_delay_alu instid0(VALU_DEP_1) | instskip(SKIP_1) | instid1(SALU_CYCLE_1)
	v_cmp_ge_u64_e32 vcc_lo, v[13:14], v[8:9]
	s_or_b32 vcc_lo, s40, vcc_lo
	s_and_b32 vcc_lo, exec_lo, vcc_lo
	s_delay_alu instid0(SALU_CYCLE_1) | instskip(NEXT) | instid1(SALU_CYCLE_1)
	s_or_b32 s38, vcc_lo, s38
	s_and_not1_b32 exec_lo, exec_lo, s38
	s_cbranch_execz .LBB4_1082
.LBB4_1076:                             ;   Parent Loop BB4_51 Depth=1
                                        ;     Parent Loop BB4_861 Depth=2
                                        ;       Parent Loop BB4_1070 Depth=3
                                        ; =>      This Inner Loop Header: Depth=4
	s_sleep 1
	flat_load_b64 v[50:51], v[32:33] glc
	v_and_b32_e32 v11, 64, v30
	s_and_not1_b32 s39, s39, exec_lo
	s_mov_b32 s40, exec_lo
	s_delay_alu instid0(VALU_DEP_1)
	v_cmpx_eq_u32_e32 0, v11
	s_cbranch_execz .LBB4_1075
; %bb.1077:                             ;   in Loop: Header=BB4_1076 Depth=4
	v_add_nc_u32_e32 v11, 1, v10
	s_mov_b32 s42, -1
	s_mov_b32 s41, exec_lo
	v_cmpx_lt_i32_e32 0x270e, v10
	s_cbranch_execz .LBB4_1074
; %bb.1078:                             ;   in Loop: Header=BB4_1076 Depth=4
	s_cbranch_execnz .LBB4_1596
; %bb.1079:                             ;   in Loop: Header=BB4_1076 Depth=4
	ds_load_b64 v[10:11], v0
	s_mov_b32 s43, exec_lo
	s_waitcnt vmcnt(0) lgkmcnt(0)
	s_waitcnt_vscnt null, 0x0
	flat_load_b32 v10, v[10:11] glc
	s_waitcnt vmcnt(0) lgkmcnt(0)
	buffer_gl1_inv
	buffer_gl0_inv
	v_cmpx_ne_u32_e32 0, v10
	s_cbranch_execz .LBB4_1073
; %bb.1080:                             ;   in Loop: Header=BB4_1076 Depth=4
	ds_store_b32 v0, v10
	s_cbranch_execnz .LBB4_1680
; %bb.1081:                             ;   in Loop: Header=BB4_1076 Depth=4
	v_or_b32_e32 v30, 64, v30
	s_xor_b32 s42, exec_lo, -1
	s_branch .LBB4_1073
.LBB4_1082:                             ;   in Loop: Header=BB4_1070 Depth=3
	s_or_b32 exec_lo, exec_lo, s38
	v_and_b32_e32 v10, 12, v30
.LBB4_1083:                             ;   in Loop: Header=BB4_1070 Depth=3
	s_or_b32 exec_lo, exec_lo, s17
	s_delay_alu instid0(VALU_DEP_1)
	v_cmp_eq_u32_e32 vcc_lo, 0, v10
	;;#ASMSTART
	s_wakeup
	;;#ASMEND
	s_or_not1_b32 s17, vcc_lo, exec_lo
.LBB4_1084:                             ;   in Loop: Header=BB4_1070 Depth=3
	s_or_b32 exec_lo, exec_lo, s16
	v_sub_nc_u32_e32 v2, v15, v16
	s_xor_b32 s13, s13, -1
	s_delay_alu instid0(SALU_CYCLE_1) | instskip(NEXT) | instid1(SALU_CYCLE_1)
	s_and_b32 s13, exec_lo, s13
	s_or_b32 s15, s13, s15
	s_delay_alu instid0(VALU_DEP_1) | instskip(SKIP_1) | instid1(SALU_CYCLE_1)
	v_min_i32_e32 v12, v12, v2
	s_xor_b32 s13, s17, -1
	s_and_saveexec_b32 s16, s13
	s_cbranch_execz .LBB4_1097
; %bb.1085:                             ;   in Loop: Header=BB4_1070 Depth=3
	v_and_b32_e32 v2, 0x108, v30
	s_delay_alu instid0(VALU_DEP_1) | instskip(SKIP_2) | instid1(SALU_CYCLE_1)
	v_cmp_ne_u32_e32 vcc_lo, 0x108, v2
	v_and_b32_e32 v2, 7, v34
	s_and_saveexec_b32 s13, vcc_lo
	s_xor_b32 s13, exec_lo, s13
	s_delay_alu instid0(SALU_CYCLE_1)
	s_and_not1_saveexec_b32 s13, s13
	s_cbranch_execz .LBB4_1087
; %bb.1086:                             ;   in Loop: Header=BB4_1070 Depth=3
	v_mad_u64_u32 v[8:9], null, v2, 24, v[6:7]
	v_ashrrev_i32_e32 v13, 31, v12
	flat_store_b64 v[8:9], v[12:13] offset:8
.LBB4_1087:                             ;   in Loop: Header=BB4_1070 Depth=3
	s_or_b32 exec_lo, exec_lo, s13
	v_and_b32_e32 v8, 0x100, v30
	s_mov_b32 s13, -1
	s_delay_alu instid0(VALU_DEP_1)
	v_cmp_ne_u32_e32 vcc_lo, 0, v8
                                        ; implicit-def: $vgpr8_vgpr9
	s_and_saveexec_b32 s17, vcc_lo
	s_cbranch_execnz .LBB4_1090
; %bb.1088:                             ;   in Loop: Header=BB4_1070 Depth=3
	s_or_b32 exec_lo, exec_lo, s17
	s_and_saveexec_b32 s17, s13
	s_cbranch_execnz .LBB4_1093
.LBB4_1089:                             ;   in Loop: Header=BB4_1070 Depth=3
	s_or_b32 exec_lo, exec_lo, s17
	s_cbranch_execnz .LBB4_1586
	s_branch .LBB4_1094
.LBB4_1090:                             ;   in Loop: Header=BB4_1070 Depth=3
	v_mad_u64_u32 v[10:11], null, v2, 24, v[6:7]
	s_delay_alu instid0(VALU_DEP_1) | instskip(NEXT) | instid1(VALU_DEP_1)
	v_mov_b32_e32 v8, v11
	v_mad_u64_u32 v[13:14], null, v3, 24, v[8:9]
	s_delay_alu instid0(VALU_DEP_1) | instskip(SKIP_4) | instid1(VALU_DEP_1)
	v_mov_b32_e32 v11, v13
	flat_load_b32 v8, v[10:11]
	s_waitcnt vmcnt(0) lgkmcnt(0)
	v_cmp_ne_u32_e32 vcc_lo, 1, v8
	v_cmp_eq_u32_e64 s13, 1, v8
                                        ; implicit-def: $vgpr8_vgpr9
	s_and_saveexec_b32 s38, s13
	s_cbranch_execz .LBB4_1092
; %bb.1091:                             ;   in Loop: Header=BB4_1070 Depth=3
	flat_load_b32 v8, v[10:11] offset:4 glc
	s_waitcnt vmcnt(0) lgkmcnt(0)
	v_ashrrev_i32_e32 v9, 31, v8
.LBB4_1092:                             ;   in Loop: Header=BB4_1070 Depth=3
	s_or_b32 exec_lo, exec_lo, s38
	s_delay_alu instid0(SALU_CYCLE_1)
	s_or_not1_b32 s13, vcc_lo, exec_lo
	s_or_b32 exec_lo, exec_lo, s17
	s_and_saveexec_b32 s17, s13
	s_cbranch_execz .LBB4_1089
.LBB4_1093:                             ;   in Loop: Header=BB4_1070 Depth=3
	v_mul_lo_u32 v10, v3, v86
	v_mul_lo_u32 v11, v2, v96
	v_mad_u64_u32 v[8:9], null, v2, v86, 0
	s_delay_alu instid0(VALU_DEP_1)
	v_add3_u32 v9, v9, v11, v10
	s_or_b32 exec_lo, exec_lo, s17
	s_cbranch_execnz .LBB4_1586
.LBB4_1094:                             ;   in Loop: Header=BB4_1070 Depth=3
	s_delay_alu instid0(VALU_DEP_2)
	v_add_co_u32 v8, vcc_lo, v36, v8
	v_and_b32_e32 v2, 0x2000, v30
	v_add_co_ci_u32_e32 v9, vcc_lo, v37, v9, vcc_lo
	s_mov_b32 s13, exec_lo
	ds_store_b64 v0, v[8:9]
	v_cmpx_ne_u32_e32 0, v2
	s_cbranch_execz .LBB4_1096
; %bb.1095:                             ;   in Loop: Header=BB4_1070 Depth=3
	ds_load_b64 v[8:9], v0 offset:584
	s_waitcnt lgkmcnt(0)
	v_add_co_u32 v8, vcc_lo, v8, 1
	v_add_co_ci_u32_e32 v9, vcc_lo, 0, v9, vcc_lo
	ds_store_b64 v0, v[8:9] offset:584
.LBB4_1096:                             ;   in Loop: Header=BB4_1070 Depth=3
	s_or_b32 exec_lo, exec_lo, s13
	v_add_co_u32 v34, vcc_lo, v34, 2
	v_add_co_ci_u32_e32 v35, vcc_lo, 0, v35, vcc_lo
.LBB4_1097:                             ;   in Loop: Header=BB4_1070 Depth=3
	s_or_b32 exec_lo, exec_lo, s16
	s_and_saveexec_b32 s13, s3
	s_cbranch_execz .LBB4_1119
; %bb.1098:                             ;   in Loop: Header=BB4_1070 Depth=3
	s_and_saveexec_b32 s16, s4
	s_delay_alu instid0(SALU_CYCLE_1)
	s_xor_b32 s16, exec_lo, s16
	s_cbranch_execz .LBB4_1116
; %bb.1099:                             ;   in Loop: Header=BB4_1070 Depth=3
	s_and_saveexec_b32 s17, s1
	s_cbranch_execz .LBB4_1115
; %bb.1100:                             ;   in Loop: Header=BB4_1070 Depth=3
	s_mov_b32 s39, exec_lo
	s_mov_b32 s38, exec_lo
	v_mbcnt_lo_u32_b32 v2, s39, 0
	s_waitcnt lgkmcnt(0)
	s_waitcnt_vscnt null, 0x0
	buffer_gl1_inv
	buffer_gl0_inv
	v_cmpx_eq_u32_e32 0, v2
	s_cbranch_execz .LBB4_1102
; %bb.1101:                             ;   in Loop: Header=BB4_1070 Depth=3
	s_bcnt1_i32_b32 vcc_lo, s39
	s_delay_alu instid0(SALU_CYCLE_1)
	v_mov_b32_e32 v2, vcc_lo
	ds_add_u64 v0, v[2:3]
	s_cbranch_execnz .LBB4_1736
.LBB4_1102:                             ;   in Loop: Header=BB4_1070 Depth=3
	s_or_b32 exec_lo, exec_lo, s38
	s_cbranch_execnz .LBB4_1706
; %bb.1103:                             ;   in Loop: Header=BB4_1070 Depth=3
	ds_load_b64 v[8:9], v0
	v_add_co_u32 v48, vcc_lo, v48, v97
	v_add_co_ci_u32_e32 v49, vcc_lo, 0, v49, vcc_lo
	s_mov_b32 s38, exec_lo
	s_waitcnt lgkmcnt(0)
	s_delay_alu instid0(VALU_DEP_1)
	v_cmpx_lt_u64_e64 v[8:9], v[48:49]
	s_cbranch_execz .LBB4_1114
; %bb.1104:                             ;   in Loop: Header=BB4_1070 Depth=3
	s_mov_b32 s39, 0
	s_mov_b32 s42, 0
                                        ; implicit-def: $sgpr40
                                        ; implicit-def: $sgpr41
	s_branch .LBB4_1106
.LBB4_1105:                             ;   in Loop: Header=BB4_1106 Depth=4
	s_or_b32 exec_lo, exec_lo, s44
	s_delay_alu instid0(SALU_CYCLE_1) | instskip(NEXT) | instid1(SALU_CYCLE_1)
	s_and_b32 vcc_lo, exec_lo, vcc_lo
	s_or_b32 s39, vcc_lo, s39
	s_and_not1_b32 vcc_lo, s40, exec_lo
	s_and_b32 s40, s41, exec_lo
	s_delay_alu instid0(SALU_CYCLE_1)
	s_or_b32 s40, vcc_lo, s40
	s_and_not1_b32 exec_lo, exec_lo, s39
	s_cbranch_execz .LBB4_1112
.LBB4_1106:                             ;   Parent Loop BB4_51 Depth=1
                                        ;     Parent Loop BB4_861 Depth=2
                                        ;       Parent Loop BB4_1070 Depth=3
                                        ; =>      This Inner Loop Header: Depth=4
	s_add_i32 s42, s42, 1
                                        ; implicit-def: $sgpr44
	s_delay_alu instid0(SALU_CYCLE_1) | instskip(SKIP_1) | instid1(SALU_CYCLE_1)
	s_cmpk_lg_i32 s42, 0x2710
	s_cselect_b32 s43, -1, 0
	s_and_b32 vcc_lo, exec_lo, s43
	s_cbranch_vccz .LBB4_1110
.LBB4_1107:                             ;   in Loop: Header=BB4_1106 Depth=4
	s_and_not1_b32 s41, s41, exec_lo
	s_and_b32 s44, s44, exec_lo
	s_mov_b32 vcc_lo, -1
	s_or_b32 s41, s41, s44
	s_and_saveexec_b32 s44, s43
	s_cbranch_execz .LBB4_1105
; %bb.1108:                             ;   in Loop: Header=BB4_1106 Depth=4
	s_sleep 1
	s_cbranch_execnz .LBB4_1788
; %bb.1109:                             ;   in Loop: Header=BB4_1106 Depth=4
	ds_load_b64 v[8:9], v0
	s_and_not1_b32 s41, s41, exec_lo
	s_waitcnt lgkmcnt(0)
	v_cmp_ge_u64_e32 vcc_lo, v[8:9], v[48:49]
	s_or_not1_b32 vcc_lo, vcc_lo, exec_lo
	s_branch .LBB4_1105
.LBB4_1110:                             ;   in Loop: Header=BB4_1106 Depth=4
	s_cbranch_execnz .LBB4_1804
; %bb.1111:                             ;   in Loop: Header=BB4_1106 Depth=4
	ds_load_b64 v[8:9], v0
	s_and_not1_b32 s43, s43, exec_lo
	s_mov_b32 s42, 0
	s_mov_b32 s44, -1
	s_waitcnt lgkmcnt(0)
	flat_load_b32 v2, v[8:9] glc
	s_waitcnt vmcnt(0) lgkmcnt(0)
	buffer_gl1_inv
	buffer_gl0_inv
	v_cmp_eq_u32_e32 vcc_lo, 0, v2
	s_and_b32 vcc_lo, vcc_lo, exec_lo
	s_delay_alu instid0(SALU_CYCLE_1)
	s_or_b32 s43, s43, vcc_lo
	s_branch .LBB4_1107
.LBB4_1112:                             ;   in Loop: Header=BB4_1070 Depth=3
	s_or_b32 exec_lo, exec_lo, s39
	s_and_saveexec_b32 vcc_lo, s40
	s_delay_alu instid0(SALU_CYCLE_1)
	s_xor_b32 vcc_lo, exec_lo, vcc_lo
	s_cbranch_execz .LBB4_1114
; %bb.1113:                             ;   in Loop: Header=BB4_1070 Depth=3
	ds_store_b32 v0, v134
	s_cbranch_execnz .LBB4_1918
.LBB4_1114:                             ;   in Loop: Header=BB4_1070 Depth=3
	s_or_b32 exec_lo, exec_lo, s38
	;;#ASMSTART
	s_wakeup
	;;#ASMEND
.LBB4_1115:                             ;   in Loop: Header=BB4_1070 Depth=3
	s_or_b32 exec_lo, exec_lo, s17
.LBB4_1116:                             ;   in Loop: Header=BB4_1070 Depth=3
	s_and_not1_saveexec_b32 s16, s16
	s_cbranch_execz .LBB4_1118
; %bb.1117:                             ;   in Loop: Header=BB4_1070 Depth=3
	s_waitcnt lgkmcnt(0)
	s_waitcnt_vscnt null, 0x0
	buffer_gl1_inv
	buffer_gl0_inv
	s_barrier
.LBB4_1118:                             ;   in Loop: Header=BB4_1070 Depth=3
	s_or_b32 exec_lo, exec_lo, s16
.LBB4_1119:                             ;   in Loop: Header=BB4_1070 Depth=3
	s_delay_alu instid0(SALU_CYCLE_1) | instskip(SKIP_1) | instid1(SALU_CYCLE_1)
	s_or_b32 exec_lo, exec_lo, s13
                                        ; implicit-def: $vgpr2
	s_and_saveexec_b32 s13, s7
	s_xor_b32 s16, exec_lo, s13
	s_cbranch_execz .LBB4_1124
; %bb.1120:                             ;   in Loop: Header=BB4_1070 Depth=3
	s_cbranch_execnz .LBB4_1618
; %bb.1121:                             ;   in Loop: Header=BB4_1070 Depth=3
	ds_load_b32 v2, v0
	v_cmp_lt_i32_e32 vcc_lo, 0, v12
	s_waitcnt lgkmcnt(0)
	v_readfirstlane_b32 s13, v2
	v_and_b32_e32 v2, 16, v30
	s_delay_alu instid0(VALU_DEP_2) | instskip(NEXT) | instid1(VALU_DEP_1)
	s_cmp_eq_u32 s13, 0
	v_cmp_ne_u32_e64 s13, 0, v2
	s_cselect_b32 s17, -1, 0
	v_and_b32_e32 v2, 16, v30
	s_and_b32 s17, vcc_lo, s17
	s_delay_alu instid0(VALU_DEP_2) | instid1(SALU_CYCLE_1)
	s_and_b32 s17, s13, s17
	s_delay_alu instid0(SALU_CYCLE_1)
	s_and_saveexec_b32 s13, s17
	s_cbranch_execz .LBB4_1123
; %bb.1122:                             ;   in Loop: Header=BB4_1070 Depth=3
	v_mov_b32_e32 v2, 1
	s_waitcnt_vscnt null, 0x0
	buffer_gl1_inv
	buffer_gl0_inv
.LBB4_1123:                             ;   in Loop: Header=BB4_1070 Depth=3
	s_or_b32 exec_lo, exec_lo, s13
.LBB4_1124:                             ;   in Loop: Header=BB4_1070 Depth=3
	s_and_not1_saveexec_b32 s13, s16
	s_cbranch_execz .LBB4_1146
; %bb.1125:                             ;   in Loop: Header=BB4_1070 Depth=3
	s_and_saveexec_b32 s16, s4
	s_delay_alu instid0(SALU_CYCLE_1)
	s_xor_b32 s16, exec_lo, s16
	s_cbranch_execz .LBB4_1143
; %bb.1126:                             ;   in Loop: Header=BB4_1070 Depth=3
	s_and_saveexec_b32 s17, s1
	s_cbranch_execz .LBB4_1142
; %bb.1127:                             ;   in Loop: Header=BB4_1070 Depth=3
	s_mov_b32 s39, exec_lo
	s_mov_b32 s38, exec_lo
	v_mbcnt_lo_u32_b32 v2, s39, 0
	;;#ASMSTART
	s_waitcnt lgkmcnt(0) vmcnt(0)
	;;#ASMEND
	s_delay_alu instid0(VALU_DEP_1)
	v_cmpx_eq_u32_e32 0, v2
	s_cbranch_execz .LBB4_1129
; %bb.1128:                             ;   in Loop: Header=BB4_1070 Depth=3
	s_bcnt1_i32_b32 vcc_lo, s39
	s_delay_alu instid0(SALU_CYCLE_1)
	v_mov_b32_e32 v2, vcc_lo
	ds_add_u64 v0, v[2:3]
	s_cbranch_execnz .LBB4_1758
.LBB4_1129:                             ;   in Loop: Header=BB4_1070 Depth=3
	s_or_b32 exec_lo, exec_lo, s38
	s_cbranch_execnz .LBB4_1734
; %bb.1130:                             ;   in Loop: Header=BB4_1070 Depth=3
	ds_load_b64 v[8:9], v0
	v_add_co_u32 v48, vcc_lo, v48, v97
	v_add_co_ci_u32_e32 v49, vcc_lo, 0, v49, vcc_lo
	s_mov_b32 s38, exec_lo
	s_waitcnt lgkmcnt(0)
	s_delay_alu instid0(VALU_DEP_1)
	v_cmpx_lt_u64_e64 v[8:9], v[48:49]
	s_cbranch_execz .LBB4_1141
; %bb.1131:                             ;   in Loop: Header=BB4_1070 Depth=3
	s_mov_b32 s39, 0
	s_mov_b32 s42, 0
                                        ; implicit-def: $sgpr40
                                        ; implicit-def: $sgpr41
	s_branch .LBB4_1133
.LBB4_1132:                             ;   in Loop: Header=BB4_1133 Depth=4
	s_or_b32 exec_lo, exec_lo, s44
	s_delay_alu instid0(SALU_CYCLE_1) | instskip(NEXT) | instid1(SALU_CYCLE_1)
	s_and_b32 vcc_lo, exec_lo, vcc_lo
	s_or_b32 s39, vcc_lo, s39
	s_and_not1_b32 vcc_lo, s40, exec_lo
	s_and_b32 s40, s41, exec_lo
	s_delay_alu instid0(SALU_CYCLE_1)
	s_or_b32 s40, vcc_lo, s40
	s_and_not1_b32 exec_lo, exec_lo, s39
	s_cbranch_execz .LBB4_1139
.LBB4_1133:                             ;   Parent Loop BB4_51 Depth=1
                                        ;     Parent Loop BB4_861 Depth=2
                                        ;       Parent Loop BB4_1070 Depth=3
                                        ; =>      This Inner Loop Header: Depth=4
	s_add_i32 s42, s42, 1
                                        ; implicit-def: $sgpr44
	s_delay_alu instid0(SALU_CYCLE_1) | instskip(SKIP_1) | instid1(SALU_CYCLE_1)
	s_cmpk_lg_i32 s42, 0x2710
	s_cselect_b32 s43, -1, 0
	s_and_b32 vcc_lo, exec_lo, s43
	s_cbranch_vccz .LBB4_1137
.LBB4_1134:                             ;   in Loop: Header=BB4_1133 Depth=4
	s_and_not1_b32 s41, s41, exec_lo
	s_and_b32 s44, s44, exec_lo
	s_mov_b32 vcc_lo, -1
	s_or_b32 s41, s41, s44
	s_and_saveexec_b32 s44, s43
	s_cbranch_execz .LBB4_1132
; %bb.1135:                             ;   in Loop: Header=BB4_1133 Depth=4
	s_sleep 1
	s_cbranch_execnz .LBB4_1814
; %bb.1136:                             ;   in Loop: Header=BB4_1133 Depth=4
	ds_load_b64 v[8:9], v0
	s_and_not1_b32 s41, s41, exec_lo
	s_waitcnt lgkmcnt(0)
	v_cmp_ge_u64_e32 vcc_lo, v[8:9], v[48:49]
	s_or_not1_b32 vcc_lo, vcc_lo, exec_lo
	s_branch .LBB4_1132
.LBB4_1137:                             ;   in Loop: Header=BB4_1133 Depth=4
	s_cbranch_execnz .LBB4_1826
; %bb.1138:                             ;   in Loop: Header=BB4_1133 Depth=4
	ds_load_b64 v[8:9], v0
	s_and_not1_b32 s43, s43, exec_lo
	s_mov_b32 s42, 0
	s_mov_b32 s44, -1
	s_waitcnt lgkmcnt(0)
	s_waitcnt_vscnt null, 0x0
	flat_load_b32 v2, v[8:9] glc
	s_waitcnt vmcnt(0) lgkmcnt(0)
	buffer_gl1_inv
	buffer_gl0_inv
	v_cmp_eq_u32_e32 vcc_lo, 0, v2
	s_and_b32 vcc_lo, vcc_lo, exec_lo
	s_delay_alu instid0(SALU_CYCLE_1)
	s_or_b32 s43, s43, vcc_lo
	s_branch .LBB4_1134
.LBB4_1139:                             ;   in Loop: Header=BB4_1070 Depth=3
	s_or_b32 exec_lo, exec_lo, s39
	s_and_saveexec_b32 vcc_lo, s40
	s_delay_alu instid0(SALU_CYCLE_1)
	s_xor_b32 vcc_lo, exec_lo, vcc_lo
	s_cbranch_execz .LBB4_1141
; %bb.1140:                             ;   in Loop: Header=BB4_1070 Depth=3
	ds_store_b32 v0, v134
	s_cbranch_execnz .LBB4_1926
.LBB4_1141:                             ;   in Loop: Header=BB4_1070 Depth=3
	s_or_b32 exec_lo, exec_lo, s38
	;;#ASMSTART
	s_wakeup
	;;#ASMEND
.LBB4_1142:                             ;   in Loop: Header=BB4_1070 Depth=3
	s_or_b32 exec_lo, exec_lo, s17
.LBB4_1143:                             ;   in Loop: Header=BB4_1070 Depth=3
	s_and_not1_saveexec_b32 s16, s16
	s_cbranch_execz .LBB4_1145
; %bb.1144:                             ;   in Loop: Header=BB4_1070 Depth=3
	;;#ASMSTART
	s_waitcnt lgkmcnt(0) vmcnt(0)
	;;#ASMEND
	s_waitcnt lgkmcnt(0)
	s_waitcnt_vscnt null, 0x0
	s_barrier
.LBB4_1145:                             ;   in Loop: Header=BB4_1070 Depth=3
	s_or_b32 exec_lo, exec_lo, s16
	v_and_b32_e32 v2, 16, v30
.LBB4_1146:                             ;   in Loop: Header=BB4_1070 Depth=3
	s_or_b32 exec_lo, exec_lo, s13
	s_delay_alu instid0(VALU_DEP_1) | instskip(SKIP_1) | instid1(SALU_CYCLE_1)
	v_cmp_ne_u32_e32 vcc_lo, 0, v2
	s_xor_b32 s13, s10, -1
	s_and_b32 s16, vcc_lo, s13
	s_delay_alu instid0(SALU_CYCLE_1)
	s_and_saveexec_b32 s13, s16
	s_cbranch_execz .LBB4_1148
; %bb.1147:                             ;   in Loop: Header=BB4_1070 Depth=3
	s_waitcnt lgkmcnt(0)
	s_waitcnt_vscnt null, 0x0
	flat_store_b32 v[38:39], v134
.LBB4_1148:                             ;   in Loop: Header=BB4_1070 Depth=3
	s_or_b32 exec_lo, exec_lo, s13
	v_and_b32_e32 v2, 48, v30
	s_mov_b32 s13, exec_lo
	s_delay_alu instid0(VALU_DEP_1)
	v_cmpx_ne_u32_e32 0, v2
	s_cbranch_execz .LBB4_1150
; %bb.1149:                             ;   in Loop: Header=BB4_1070 Depth=3
	v_add_co_u32 v34, vcc_lo, v34, 2
	v_add_co_ci_u32_e32 v35, vcc_lo, 0, v35, vcc_lo
	s_waitcnt lgkmcnt(0)
	s_waitcnt_vscnt null, 0x0
	flat_store_b64 v[32:33], v[34:35]
.LBB4_1150:                             ;   in Loop: Header=BB4_1070 Depth=3
	s_or_b32 exec_lo, exec_lo, s13
	v_add_nc_u32_e32 v16, v12, v16
	s_mov_b32 s13, 0
	s_and_not1_b32 exec_lo, exec_lo, s15
	s_cbranch_execnz .LBB4_1070
; %bb.1151:                             ;   in Loop: Header=BB4_861 Depth=2
	s_or_b32 exec_lo, exec_lo, s15
.LBB4_1152:                             ;   in Loop: Header=BB4_861 Depth=2
	s_delay_alu instid0(SALU_CYCLE_1)
	s_or_b32 exec_lo, exec_lo, s14
	s_add_i32 s13, s37, 1
	s_cmp_eq_u32 s37, s22
	s_cbranch_scc1 .LBB4_1154
; %bb.1153:                             ;   in Loop: Header=BB4_861 Depth=2
	s_mov_b32 s37, s13
	s_branch .LBB4_861
.LBB4_1154:                             ;   in Loop: Header=BB4_51 Depth=1
	s_mov_b32 s13, s26
	v_mul_lo_u32 v10, v64, vcc_hi
	v_mul_lo_u32 v2, v65, s13
	v_mad_u64_u32 v[8:9], null, v64, s13, 0
	v_mov_b32_e32 v14, 0
	s_mov_b32 s16, 0
	s_delay_alu instid0(VALU_DEP_2) | instskip(NEXT) | instid1(VALU_DEP_3)
	v_add3_u32 v9, v9, v10, v2
	v_sub_co_u32 v10, vcc_lo, v66, v8
	s_delay_alu instid0(VALU_DEP_2) | instskip(NEXT) | instid1(VALU_DEP_1)
	v_sub_co_ci_u32_e32 v11, vcc_lo, v67, v9, vcc_lo
	v_cmp_lt_i64_e32 vcc_lo, v[64:65], v[10:11]
	v_cndmask_b32_e32 v10, v10, v64, vcc_lo
	s_delay_alu instid0(VALU_DEP_1) | instskip(NEXT) | instid1(VALU_DEP_1)
	v_max_i32_e32 v12, 0, v10
	v_add_nc_u32_e32 v2, 31, v12
	s_delay_alu instid0(VALU_DEP_1) | instskip(NEXT) | instid1(VALU_DEP_1)
	v_lshrrev_b32_e32 v2, 1, v2
	v_and_b32_e32 v11, 0x3ffffff0, v2
	v_cmp_lt_i32_e32 vcc_lo, 0, v10
	v_mov_b32_e32 v2, 0
	s_delay_alu instid0(VALU_DEP_3) | instskip(SKIP_1) | instid1(SALU_CYCLE_1)
	v_max_i32_e32 v13, s25, v11
	s_and_b32 s13, s27, vcc_lo
	s_and_saveexec_b32 s15, s13
	s_cbranch_execz .LBB4_1315
; %bb.1155:                             ;   in Loop: Header=BB4_51 Depth=1
	v_add_co_u32 v15, vcc_lo, v8, v135
	v_add_co_ci_u32_e32 v16, vcc_lo, v9, v144, vcc_lo
	v_mov_b32_e32 v14, 0
	s_mov_b32 s37, 1
	s_mov_b32 s17, -1
.LBB4_1156:                             ;   Parent Loop BB4_51 Depth=1
                                        ; =>  This Loop Header: Depth=2
                                        ;       Child Loop BB4_1165 Depth 3
                                        ;       Child Loop BB4_1192 Depth 3
	;; [unrolled: 1-line block ×9, first 2 shown]
	s_and_saveexec_b32 s14, s0
	s_cbranch_execz .LBB4_1159
; %bb.1157:                             ;   in Loop: Header=BB4_1156 Depth=2
	s_cbranch_execnz .LBB4_1570
; %bb.1158:                             ;   in Loop: Header=BB4_1156 Depth=2
	ds_load_b128 v[8:11], v0
	v_ashrrev_i32_e32 v2, 31, v14
	s_waitcnt lgkmcnt(0)
	v_add_co_u32 v17, vcc_lo, v10, v15
	v_add_co_ci_u32_e32 v18, vcc_lo, v11, v16, vcc_lo
	v_add_co_u32 v8, vcc_lo, v8, v15
	v_add_co_ci_u32_e32 v9, vcc_lo, v9, v16, vcc_lo
	s_delay_alu instid0(VALU_DEP_4) | instskip(NEXT) | instid1(VALU_DEP_4)
	v_add_co_u32 v17, vcc_lo, v17, v14
	v_add_co_ci_u32_e32 v18, vcc_lo, v18, v2, vcc_lo
	v_cmp_ne_u64_e32 vcc_lo, 0, v[10:11]
	v_add_co_u32 v8, s13, v8, v14
	s_delay_alu instid0(VALU_DEP_1) | instskip(NEXT) | instid1(VALU_DEP_4)
	v_add_co_ci_u32_e64 v9, s13, v9, v2, s13
	v_dual_cndmask_b32 v11, 0, v18 :: v_dual_cndmask_b32 v10, 0, v17
	ds_store_b64 v0, v[8:9]
	ds_store_b64 v0, v[10:11]
.LBB4_1159:                             ;   in Loop: Header=BB4_1156 Depth=2
	s_or_b32 exec_lo, exec_lo, s14
	v_and_b32_e32 v2, 4, v30
	s_mov_b32 s14, -1
	s_mov_b32 s13, exec_lo
	s_delay_alu instid0(VALU_DEP_1)
	v_cmpx_ne_u32_e32 0, v2
	s_cbranch_execz .LBB4_1173
; %bb.1160:                             ;   in Loop: Header=BB4_1156 Depth=2
	v_add_co_u32 v8, vcc_lo, v34, 2
	v_add_co_ci_u32_e32 v9, vcc_lo, 0, v35, vcc_lo
	v_mov_b32_e32 v2, 1
	s_mov_b32 s14, exec_lo
	s_delay_alu instid0(VALU_DEP_2)
	v_cmpx_lt_u64_e64 v[50:51], v[8:9]
	s_cbranch_execz .LBB4_1172
; %bb.1161:                             ;   in Loop: Header=BB4_1156 Depth=2
	v_mov_b32_e32 v2, 0
	s_mov_b32 s38, 0
                                        ; implicit-def: $sgpr39
	s_branch .LBB4_1165
.LBB4_1162:                             ;   in Loop: Header=BB4_1165 Depth=3
	s_or_b32 exec_lo, exec_lo, s43
	v_mov_b32_e32 v10, 0
	s_or_not1_b32 s42, s42, exec_lo
.LBB4_1163:                             ;   in Loop: Header=BB4_1165 Depth=3
	s_or_b32 exec_lo, exec_lo, s41
	s_delay_alu instid0(VALU_DEP_1) | instskip(SKIP_2) | instid1(SALU_CYCLE_1)
	v_mov_b32_e32 v2, v10
	s_and_not1_b32 vcc_lo, s39, exec_lo
	s_and_b32 s39, s42, exec_lo
	s_or_b32 s39, vcc_lo, s39
.LBB4_1164:                             ;   in Loop: Header=BB4_1165 Depth=3
	s_or_b32 exec_lo, exec_lo, s40
	s_waitcnt vmcnt(0) lgkmcnt(0)
	v_cmp_ge_u64_e32 vcc_lo, v[50:51], v[8:9]
	s_xor_b32 s40, s39, -1
	s_delay_alu instid0(SALU_CYCLE_1) | instskip(NEXT) | instid1(SALU_CYCLE_1)
	s_or_b32 vcc_lo, s40, vcc_lo
	s_and_b32 vcc_lo, exec_lo, vcc_lo
	s_delay_alu instid0(SALU_CYCLE_1) | instskip(NEXT) | instid1(SALU_CYCLE_1)
	s_or_b32 s38, vcc_lo, s38
	s_and_not1_b32 exec_lo, exec_lo, s38
	s_cbranch_execz .LBB4_1171
.LBB4_1165:                             ;   Parent Loop BB4_51 Depth=1
                                        ;     Parent Loop BB4_1156 Depth=2
                                        ; =>    This Inner Loop Header: Depth=3
	s_sleep 1
	flat_load_b64 v[50:51], v[32:33] glc
	v_and_b32_e32 v10, 64, v30
	s_and_not1_b32 s39, s39, exec_lo
	s_mov_b32 s40, exec_lo
	s_delay_alu instid0(VALU_DEP_1)
	v_cmpx_eq_u32_e32 0, v10
	s_cbranch_execz .LBB4_1164
; %bb.1166:                             ;   in Loop: Header=BB4_1165 Depth=3
	v_add_nc_u32_e32 v10, 1, v2
	s_mov_b32 s42, -1
	s_mov_b32 s41, exec_lo
	v_cmpx_lt_i32_e32 0x270e, v2
	s_cbranch_execz .LBB4_1163
; %bb.1167:                             ;   in Loop: Header=BB4_1165 Depth=3
	s_cbranch_execnz .LBB4_1614
; %bb.1168:                             ;   in Loop: Header=BB4_1165 Depth=3
	ds_load_b64 v[10:11], v0
	s_mov_b32 s43, exec_lo
	s_waitcnt vmcnt(0) lgkmcnt(0)
	s_waitcnt_vscnt null, 0x0
	flat_load_b32 v2, v[10:11] glc
	s_waitcnt vmcnt(0) lgkmcnt(0)
	buffer_gl1_inv
	buffer_gl0_inv
	v_cmpx_ne_u32_e32 0, v2
	s_cbranch_execz .LBB4_1162
; %bb.1169:                             ;   in Loop: Header=BB4_1165 Depth=3
	ds_store_b32 v0, v2
	s_cbranch_execnz .LBB4_1692
; %bb.1170:                             ;   in Loop: Header=BB4_1165 Depth=3
	v_or_b32_e32 v30, 64, v30
	s_xor_b32 s42, exec_lo, -1
	s_branch .LBB4_1162
.LBB4_1171:                             ;   in Loop: Header=BB4_1156 Depth=2
	s_or_b32 exec_lo, exec_lo, s38
	v_and_b32_e32 v2, 4, v30
.LBB4_1172:                             ;   in Loop: Header=BB4_1156 Depth=2
	s_or_b32 exec_lo, exec_lo, s14
	s_delay_alu instid0(VALU_DEP_1)
	v_cmp_eq_u32_e32 vcc_lo, 0, v2
	;;#ASMSTART
	s_wakeup
	;;#ASMEND
	s_or_not1_b32 s14, vcc_lo, exec_lo
.LBB4_1173:                             ;   in Loop: Header=BB4_1156 Depth=2
	s_or_b32 exec_lo, exec_lo, s13
	s_xor_b32 s13, s14, -1
	s_delay_alu instid0(SALU_CYCLE_1)
	s_and_saveexec_b32 s14, s13
	s_cbranch_execz .LBB4_1183
; %bb.1174:                             ;   in Loop: Header=BB4_1156 Depth=2
	v_and_b32_e32 v2, 0x100, v30
	s_mov_b32 s13, -1
                                        ; implicit-def: $vgpr8_vgpr9
	s_delay_alu instid0(VALU_DEP_1)
	v_cmp_ne_u32_e32 vcc_lo, 0, v2
	v_and_b32_e32 v2, 7, v34
	s_and_saveexec_b32 s38, vcc_lo
	s_cbranch_execz .LBB4_1178
; %bb.1175:                             ;   in Loop: Header=BB4_1156 Depth=2
	s_delay_alu instid0(VALU_DEP_1) | instskip(SKIP_4) | instid1(VALU_DEP_1)
	v_mad_u64_u32 v[10:11], null, v2, 24, v[6:7]
	flat_load_b32 v8, v[10:11]
	s_waitcnt vmcnt(0) lgkmcnt(0)
	v_cmp_ne_u32_e32 vcc_lo, 1, v8
	v_cmp_eq_u32_e64 s13, 1, v8
                                        ; implicit-def: $vgpr8_vgpr9
	s_and_saveexec_b32 s39, s13
	s_cbranch_execz .LBB4_1177
; %bb.1176:                             ;   in Loop: Header=BB4_1156 Depth=2
	flat_load_b32 v8, v[10:11] offset:4 glc
	s_waitcnt vmcnt(0) lgkmcnt(0)
	v_ashrrev_i32_e32 v9, 31, v8
.LBB4_1177:                             ;   in Loop: Header=BB4_1156 Depth=2
	s_or_b32 exec_lo, exec_lo, s39
	s_delay_alu instid0(SALU_CYCLE_1)
	s_or_not1_b32 s13, vcc_lo, exec_lo
.LBB4_1178:                             ;   in Loop: Header=BB4_1156 Depth=2
	s_or_b32 exec_lo, exec_lo, s38
	s_and_saveexec_b32 vcc_lo, s13
; %bb.1179:                             ;   in Loop: Header=BB4_1156 Depth=2
	v_mad_i64_i32 v[8:9], null, v2, v86, 0
; %bb.1180:                             ;   in Loop: Header=BB4_1156 Depth=2
	s_or_b32 exec_lo, exec_lo, vcc_lo
	s_delay_alu instid0(VALU_DEP_1) | instskip(SKIP_1) | instid1(VALU_DEP_3)
	v_add_co_u32 v8, vcc_lo, v36, v8
	v_and_b32_e32 v2, 0x2000, v30
	v_add_co_ci_u32_e32 v9, vcc_lo, v37, v9, vcc_lo
	s_mov_b32 s13, exec_lo
	ds_store_b64 v0, v[8:9] offset:720
	v_cmpx_ne_u32_e32 0, v2
	s_cbranch_execz .LBB4_1182
; %bb.1181:                             ;   in Loop: Header=BB4_1156 Depth=2
	ds_load_b64 v[8:9], v0 offset:584
	s_waitcnt lgkmcnt(0)
	v_add_co_u32 v8, vcc_lo, v8, 1
	v_add_co_ci_u32_e32 v9, vcc_lo, 0, v9, vcc_lo
	ds_store_b64 v0, v[8:9] offset:584
.LBB4_1182:                             ;   in Loop: Header=BB4_1156 Depth=2
	s_or_b32 exec_lo, exec_lo, s13
	v_add_co_u32 v34, vcc_lo, v34, 2
	v_add_co_ci_u32_e32 v35, vcc_lo, 0, v35, vcc_lo
.LBB4_1183:                             ;   in Loop: Header=BB4_1156 Depth=2
	s_or_b32 exec_lo, exec_lo, s14
	s_and_saveexec_b32 s13, s3
	s_cbranch_execz .LBB4_1205
; %bb.1184:                             ;   in Loop: Header=BB4_1156 Depth=2
	s_and_saveexec_b32 s14, s4
	s_delay_alu instid0(SALU_CYCLE_1)
	s_xor_b32 s14, exec_lo, s14
	s_cbranch_execz .LBB4_1202
; %bb.1185:                             ;   in Loop: Header=BB4_1156 Depth=2
	s_and_saveexec_b32 s38, s1
	s_cbranch_execz .LBB4_1201
; %bb.1186:                             ;   in Loop: Header=BB4_1156 Depth=2
	s_mov_b32 s40, exec_lo
	s_mov_b32 s39, exec_lo
	v_mbcnt_lo_u32_b32 v2, s40, 0
	s_waitcnt lgkmcnt(0)
	s_waitcnt_vscnt null, 0x0
	buffer_gl1_inv
	buffer_gl0_inv
	v_cmpx_eq_u32_e32 0, v2
	s_cbranch_execz .LBB4_1188
; %bb.1187:                             ;   in Loop: Header=BB4_1156 Depth=2
	s_bcnt1_i32_b32 vcc_lo, s40
	s_delay_alu instid0(SALU_CYCLE_1)
	v_mov_b32_e32 v2, vcc_lo
	ds_add_u64 v0, v[2:3]
	s_cbranch_execnz .LBB4_1728
.LBB4_1188:                             ;   in Loop: Header=BB4_1156 Depth=2
	s_or_b32 exec_lo, exec_lo, s39
	s_cbranch_execnz .LBB4_1700
; %bb.1189:                             ;   in Loop: Header=BB4_1156 Depth=2
	ds_load_b64 v[8:9], v0
	v_add_co_u32 v48, vcc_lo, v48, v97
	v_add_co_ci_u32_e32 v49, vcc_lo, 0, v49, vcc_lo
	s_mov_b32 s39, exec_lo
	s_waitcnt lgkmcnt(0)
	s_delay_alu instid0(VALU_DEP_1)
	v_cmpx_lt_u64_e64 v[8:9], v[48:49]
	s_cbranch_execz .LBB4_1200
; %bb.1190:                             ;   in Loop: Header=BB4_1156 Depth=2
	s_mov_b32 s40, 0
	s_mov_b32 s43, 0
                                        ; implicit-def: $sgpr41
                                        ; implicit-def: $sgpr42
	s_branch .LBB4_1192
.LBB4_1191:                             ;   in Loop: Header=BB4_1192 Depth=3
	s_or_b32 exec_lo, exec_lo, s45
	s_delay_alu instid0(SALU_CYCLE_1) | instskip(NEXT) | instid1(SALU_CYCLE_1)
	s_and_b32 vcc_lo, exec_lo, vcc_lo
	s_or_b32 s40, vcc_lo, s40
	s_and_not1_b32 vcc_lo, s41, exec_lo
	s_and_b32 s41, s42, exec_lo
	s_delay_alu instid0(SALU_CYCLE_1)
	s_or_b32 s41, vcc_lo, s41
	s_and_not1_b32 exec_lo, exec_lo, s40
	s_cbranch_execz .LBB4_1198
.LBB4_1192:                             ;   Parent Loop BB4_51 Depth=1
                                        ;     Parent Loop BB4_1156 Depth=2
                                        ; =>    This Inner Loop Header: Depth=3
	s_add_i32 s43, s43, 1
                                        ; implicit-def: $sgpr45
	s_delay_alu instid0(SALU_CYCLE_1) | instskip(SKIP_1) | instid1(SALU_CYCLE_1)
	s_cmpk_lg_i32 s43, 0x2710
	s_cselect_b32 s44, -1, 0
	s_and_b32 vcc_lo, exec_lo, s44
	s_cbranch_vccz .LBB4_1196
.LBB4_1193:                             ;   in Loop: Header=BB4_1192 Depth=3
	s_and_not1_b32 s42, s42, exec_lo
	s_and_b32 s45, s45, exec_lo
	s_mov_b32 vcc_lo, -1
	s_or_b32 s42, s42, s45
	s_and_saveexec_b32 s45, s44
	s_cbranch_execz .LBB4_1191
; %bb.1194:                             ;   in Loop: Header=BB4_1192 Depth=3
	s_sleep 1
	s_cbranch_execnz .LBB4_1780
; %bb.1195:                             ;   in Loop: Header=BB4_1192 Depth=3
	ds_load_b64 v[8:9], v0
	s_and_not1_b32 s42, s42, exec_lo
	s_waitcnt lgkmcnt(0)
	v_cmp_ge_u64_e32 vcc_lo, v[8:9], v[48:49]
	s_or_not1_b32 vcc_lo, vcc_lo, exec_lo
	s_branch .LBB4_1191
.LBB4_1196:                             ;   in Loop: Header=BB4_1192 Depth=3
	s_cbranch_execnz .LBB4_1794
; %bb.1197:                             ;   in Loop: Header=BB4_1192 Depth=3
	ds_load_b64 v[8:9], v0
	s_and_not1_b32 s44, s44, exec_lo
	s_mov_b32 s43, 0
	s_mov_b32 s45, -1
	s_waitcnt lgkmcnt(0)
	flat_load_b32 v2, v[8:9] glc
	s_waitcnt vmcnt(0) lgkmcnt(0)
	buffer_gl1_inv
	buffer_gl0_inv
	v_cmp_eq_u32_e32 vcc_lo, 0, v2
	s_and_b32 vcc_lo, vcc_lo, exec_lo
	s_delay_alu instid0(SALU_CYCLE_1)
	s_or_b32 s44, s44, vcc_lo
	s_branch .LBB4_1193
.LBB4_1198:                             ;   in Loop: Header=BB4_1156 Depth=2
	s_or_b32 exec_lo, exec_lo, s40
	s_and_saveexec_b32 vcc_lo, s41
	s_delay_alu instid0(SALU_CYCLE_1)
	s_xor_b32 vcc_lo, exec_lo, vcc_lo
	s_cbranch_execz .LBB4_1200
; %bb.1199:                             ;   in Loop: Header=BB4_1156 Depth=2
	ds_store_b32 v0, v134
	s_cbranch_execnz .LBB4_1914
.LBB4_1200:                             ;   in Loop: Header=BB4_1156 Depth=2
	s_or_b32 exec_lo, exec_lo, s39
	;;#ASMSTART
	s_wakeup
	;;#ASMEND
.LBB4_1201:                             ;   in Loop: Header=BB4_1156 Depth=2
	s_or_b32 exec_lo, exec_lo, s38
.LBB4_1202:                             ;   in Loop: Header=BB4_1156 Depth=2
	s_and_not1_saveexec_b32 s14, s14
	s_cbranch_execz .LBB4_1204
; %bb.1203:                             ;   in Loop: Header=BB4_1156 Depth=2
	s_waitcnt lgkmcnt(0)
	s_waitcnt_vscnt null, 0x0
	buffer_gl1_inv
	buffer_gl0_inv
	s_barrier
.LBB4_1204:                             ;   in Loop: Header=BB4_1156 Depth=2
	s_or_b32 exec_lo, exec_lo, s14
.LBB4_1205:                             ;   in Loop: Header=BB4_1156 Depth=2
	s_delay_alu instid0(SALU_CYCLE_1)
	s_or_b32 exec_lo, exec_lo, s13
	s_cbranch_execnz .LBB4_1564
; %bb.1206:                             ;   in Loop: Header=BB4_1156 Depth=2
	ds_load_b32 v8, v0
	v_and_b32_e32 v2, 0x4000, v30
	s_xor_b32 s13, s2, -1
	s_delay_alu instid0(VALU_DEP_1) | instskip(SKIP_1) | instid1(SALU_CYCLE_1)
	v_cmp_ne_u32_e32 vcc_lo, 0, v2
	s_and_b32 s14, s13, vcc_lo
	s_and_saveexec_b32 s13, s14
	s_cbranch_execz .LBB4_1228
; %bb.1207:                             ;   in Loop: Header=BB4_1156 Depth=2
	s_and_saveexec_b32 s14, s4
	s_delay_alu instid0(SALU_CYCLE_1)
	s_xor_b32 s14, exec_lo, s14
	s_cbranch_execz .LBB4_1225
; %bb.1208:                             ;   in Loop: Header=BB4_1156 Depth=2
	s_and_saveexec_b32 s38, s1
	s_cbranch_execz .LBB4_1224
; %bb.1209:                             ;   in Loop: Header=BB4_1156 Depth=2
	s_mov_b32 s40, exec_lo
	s_mov_b32 s39, exec_lo
	v_mbcnt_lo_u32_b32 v2, s40, 0
	s_waitcnt lgkmcnt(0)
	s_waitcnt_vscnt null, 0x0
	buffer_gl1_inv
	buffer_gl0_inv
	v_cmpx_eq_u32_e32 0, v2
	s_cbranch_execz .LBB4_1211
; %bb.1210:                             ;   in Loop: Header=BB4_1156 Depth=2
	s_bcnt1_i32_b32 vcc_lo, s40
	s_delay_alu instid0(SALU_CYCLE_1)
	v_mov_b32_e32 v2, vcc_lo
	ds_add_u64 v0, v[2:3]
	s_cbranch_execnz .LBB4_1772
.LBB4_1211:                             ;   in Loop: Header=BB4_1156 Depth=2
	s_or_b32 exec_lo, exec_lo, s39
	s_cbranch_execnz .LBB4_1752
; %bb.1212:                             ;   in Loop: Header=BB4_1156 Depth=2
	ds_load_b64 v[9:10], v0
	v_add_co_u32 v48, vcc_lo, v48, v97
	v_add_co_ci_u32_e32 v49, vcc_lo, 0, v49, vcc_lo
	s_mov_b32 s39, exec_lo
	s_waitcnt lgkmcnt(0)
	s_delay_alu instid0(VALU_DEP_1)
	v_cmpx_lt_u64_e64 v[9:10], v[48:49]
	s_cbranch_execz .LBB4_1223
; %bb.1213:                             ;   in Loop: Header=BB4_1156 Depth=2
	s_mov_b32 s40, 0
	s_mov_b32 s43, 0
                                        ; implicit-def: $sgpr41
                                        ; implicit-def: $sgpr42
	s_branch .LBB4_1215
.LBB4_1214:                             ;   in Loop: Header=BB4_1215 Depth=3
	s_or_b32 exec_lo, exec_lo, s45
	s_delay_alu instid0(SALU_CYCLE_1) | instskip(NEXT) | instid1(SALU_CYCLE_1)
	s_and_b32 vcc_lo, exec_lo, vcc_lo
	s_or_b32 s40, vcc_lo, s40
	s_and_not1_b32 vcc_lo, s41, exec_lo
	s_and_b32 s41, s42, exec_lo
	s_delay_alu instid0(SALU_CYCLE_1)
	s_or_b32 s41, vcc_lo, s41
	s_and_not1_b32 exec_lo, exec_lo, s40
	s_cbranch_execz .LBB4_1221
.LBB4_1215:                             ;   Parent Loop BB4_51 Depth=1
                                        ;     Parent Loop BB4_1156 Depth=2
                                        ; =>    This Inner Loop Header: Depth=3
	s_add_i32 s43, s43, 1
                                        ; implicit-def: $sgpr45
	s_delay_alu instid0(SALU_CYCLE_1) | instskip(SKIP_1) | instid1(SALU_CYCLE_1)
	s_cmpk_lg_i32 s43, 0x2710
	s_cselect_b32 s44, -1, 0
	s_and_b32 vcc_lo, exec_lo, s44
	s_cbranch_vccz .LBB4_1219
.LBB4_1216:                             ;   in Loop: Header=BB4_1215 Depth=3
	s_and_not1_b32 s42, s42, exec_lo
	s_and_b32 s45, s45, exec_lo
	s_mov_b32 vcc_lo, -1
	s_or_b32 s42, s42, s45
	s_and_saveexec_b32 s45, s44
	s_cbranch_execz .LBB4_1214
; %bb.1217:                             ;   in Loop: Header=BB4_1215 Depth=3
	s_sleep 1
	s_cbranch_execnz .LBB4_1830
; %bb.1218:                             ;   in Loop: Header=BB4_1215 Depth=3
	ds_load_b64 v[9:10], v0
	s_and_not1_b32 s42, s42, exec_lo
	s_waitcnt lgkmcnt(0)
	v_cmp_ge_u64_e32 vcc_lo, v[9:10], v[48:49]
	s_or_not1_b32 vcc_lo, vcc_lo, exec_lo
	s_branch .LBB4_1214
.LBB4_1219:                             ;   in Loop: Header=BB4_1215 Depth=3
	s_cbranch_execnz .LBB4_1842
; %bb.1220:                             ;   in Loop: Header=BB4_1215 Depth=3
	ds_load_b64 v[9:10], v0
	s_and_not1_b32 s44, s44, exec_lo
	s_mov_b32 s43, 0
	s_mov_b32 s45, -1
	s_waitcnt lgkmcnt(0)
	flat_load_b32 v2, v[9:10] glc
	s_waitcnt vmcnt(0) lgkmcnt(0)
	buffer_gl1_inv
	buffer_gl0_inv
	v_cmp_eq_u32_e32 vcc_lo, 0, v2
	s_and_b32 vcc_lo, vcc_lo, exec_lo
	s_delay_alu instid0(SALU_CYCLE_1)
	s_or_b32 s44, s44, vcc_lo
	s_branch .LBB4_1216
.LBB4_1221:                             ;   in Loop: Header=BB4_1156 Depth=2
	s_or_b32 exec_lo, exec_lo, s40
	s_and_saveexec_b32 vcc_lo, s41
	s_delay_alu instid0(SALU_CYCLE_1)
	s_xor_b32 vcc_lo, exec_lo, vcc_lo
	s_cbranch_execz .LBB4_1223
; %bb.1222:                             ;   in Loop: Header=BB4_1156 Depth=2
	ds_store_b32 v0, v134
	s_cbranch_execnz .LBB4_1928
.LBB4_1223:                             ;   in Loop: Header=BB4_1156 Depth=2
	s_or_b32 exec_lo, exec_lo, s39
	;;#ASMSTART
	s_wakeup
	;;#ASMEND
.LBB4_1224:                             ;   in Loop: Header=BB4_1156 Depth=2
	s_or_b32 exec_lo, exec_lo, s38
.LBB4_1225:                             ;   in Loop: Header=BB4_1156 Depth=2
	s_and_not1_saveexec_b32 s14, s14
	s_cbranch_execz .LBB4_1227
; %bb.1226:                             ;   in Loop: Header=BB4_1156 Depth=2
	s_waitcnt lgkmcnt(0)
	s_waitcnt_vscnt null, 0x0
	buffer_gl1_inv
	buffer_gl0_inv
	s_barrier
.LBB4_1227:                             ;   in Loop: Header=BB4_1156 Depth=2
	s_or_b32 exec_lo, exec_lo, s14
.LBB4_1228:                             ;   in Loop: Header=BB4_1156 Depth=2
	s_delay_alu instid0(SALU_CYCLE_1)
	s_or_b32 exec_lo, exec_lo, s13
	s_cbranch_execnz .LBB4_1622
; %bb.1229:                             ;   in Loop: Header=BB4_1156 Depth=2
	ds_load_b64 v[9:10], v0
	v_sub_nc_u32_e32 v2, v12, v14
	v_mov_b32_e32 v17, 0
	s_delay_alu instid0(VALU_DEP_2) | instskip(SKIP_3) | instid1(SALU_CYCLE_1)
	v_min_i32_e32 v13, v13, v2
	s_waitcnt lgkmcnt(0)
	v_cmp_eq_u64_e32 vcc_lo, 0, v[9:10]
	s_or_b32 s13, vcc_lo, vcc_lo
	s_and_b32 vcc_lo, exec_lo, s13
	s_cbranch_vccnz .LBB4_1263
; %bb.1230:                             ;   in Loop: Header=BB4_1156 Depth=2
	s_mov_b32 s13, -1
	s_and_saveexec_b32 s14, s6
	s_cbranch_execz .LBB4_1232
; %bb.1231:                             ;   in Loop: Header=BB4_1156 Depth=2
	ds_load_b32 v2, v0 offset:720
	s_waitcnt lgkmcnt(0)
	v_and_b32_e32 v2, 15, v2
	s_delay_alu instid0(VALU_DEP_1)
	v_cmp_eq_u32_e32 vcc_lo, 0, v2
	s_or_not1_b32 s13, vcc_lo, exec_lo
.LBB4_1232:                             ;   in Loop: Header=BB4_1156 Depth=2
	s_or_b32 exec_lo, exec_lo, s14
	s_and_saveexec_b32 s14, s5
	s_cbranch_execz .LBB4_1234
; %bb.1233:                             ;   in Loop: Header=BB4_1156 Depth=2
	ds_load_b32 v2, v0 offset:784
	s_waitcnt lgkmcnt(0)
	v_and_b32_e32 v2, 15, v2
	s_delay_alu instid0(VALU_DEP_1) | instskip(SKIP_3) | instid1(SALU_CYCLE_1)
	v_cmp_eq_u32_e32 vcc_lo, 0, v2
	s_and_b32 vcc_lo, s13, vcc_lo
	s_and_not1_b32 s13, s13, exec_lo
	s_and_b32 vcc_lo, vcc_lo, exec_lo
	s_or_b32 s13, s13, vcc_lo
.LBB4_1234:                             ;   in Loop: Header=BB4_1156 Depth=2
	s_or_b32 exec_lo, exec_lo, s14
	v_cmp_eq_u32_e32 vcc_lo, 0, v8
	s_xor_b32 s13, s13, -1
	v_mov_b32_e32 v22, v99
	v_cndmask_b32_e64 v2, 0, 1, s13
	;;#ASMSTART
	;;#ASMEND
	v_cndmask_b32_e32 v17, 0, v13, vcc_lo
	s_delay_alu instid0(VALU_DEP_2) | instskip(SKIP_2) | instid1(VALU_DEP_3)
	v_cmp_ne_u32_e32 vcc_lo, 0, v2
	v_mov_b32_e32 v2, 0
	s_mov_b32 s13, -1
	v_dual_mov_b32 v19, v0 :: v_dual_mov_b32 v18, v17
	s_cbranch_vccnz .LBB4_1250
; %bb.1235:                             ;   in Loop: Header=BB4_1156 Depth=2
	v_ashrrev_i32_e32 v2, 31, v17
	s_mov_b32 s14, exec_lo
	s_delay_alu instid0(VALU_DEP_1) | instskip(NEXT) | instid1(VALU_DEP_1)
	v_lshrrev_b32_e32 v2, 21, v2
	v_add_nc_u32_e32 v2, v17, v2
	s_delay_alu instid0(VALU_DEP_1) | instskip(NEXT) | instid1(VALU_DEP_1)
	v_ashrrev_i32_e32 v2, 11, v2
	v_sub_nc_u32_e32 v20, v2, v99
	s_delay_alu instid0(VALU_DEP_1)
	v_cmpx_lt_i32_e32 0, v20
	s_cbranch_execz .LBB4_1240
; %bb.1236:                             ;   in Loop: Header=BB4_1156 Depth=2
	s_cbranch_execnz .LBB4_1798
; %bb.1237:                             ;   in Loop: Header=BB4_1156 Depth=2
	ds_load_b64 v[8:9], v0
	s_mov_b32 s38, 0
	s_waitcnt lgkmcnt(0)
	v_dual_mov_b32 v11, v9 :: v_dual_mov_b32 v10, v8
	s_set_inst_prefetch_distance 0x1
.LBB4_1238:                             ;   Parent Loop BB4_51 Depth=1
                                        ;     Parent Loop BB4_1156 Depth=2
                                        ; =>    This Inner Loop Header: Depth=3
	s_delay_alu instid0(VALU_DEP_1) | instskip(NEXT) | instid1(VALU_DEP_2)
	v_add_co_u32 v18, vcc_lo, v102, v10
	v_add_co_ci_u32_e32 v19, vcc_lo, v112, v11, vcc_lo
	v_sub_nc_u32_e32 v20, v20, v97
	s_clause 0x3
	global_load_b128 v[66:69], v[18:19], off slc dlc
	global_load_b128 v[80:83], v[18:19], off offset:512 slc dlc
	global_load_b128 v[144:147], v[18:19], off offset:1024 slc dlc
	global_load_b128 v[148:151], v[18:19], off offset:1536 slc dlc
	v_add_co_u32 v18, vcc_lo, v102, v8
	v_add_co_ci_u32_e32 v19, vcc_lo, v112, v9, vcc_lo
	v_add_co_u32 v10, vcc_lo, v10, v113
	v_add_co_ci_u32_e32 v11, vcc_lo, v11, v114, vcc_lo
	v_add_co_u32 v8, vcc_lo, v8, v113
	v_cmp_gt_i32_e64 s13, 1, v20
	v_add_co_ci_u32_e32 v9, vcc_lo, v9, v114, vcc_lo
	s_waitcnt vmcnt(3)
	global_store_b128 v[18:19], v[66:69], off glc slc dlc
	s_waitcnt vmcnt(2)
	global_store_b128 v[18:19], v[80:83], off offset:512 glc slc dlc
	s_waitcnt vmcnt(1)
	global_store_b128 v[18:19], v[144:147], off offset:1024 glc slc dlc
	;; [unrolled: 2-line block ×3, first 2 shown]
	s_or_b32 s38, s13, s38
	s_delay_alu instid0(SALU_CYCLE_1)
	s_and_not1_b32 exec_lo, exec_lo, s38
	s_cbranch_execnz .LBB4_1238
; %bb.1239:                             ;   in Loop: Header=BB4_1156 Depth=2
	s_set_inst_prefetch_distance 0x2
	s_or_b32 exec_lo, exec_lo, s38
.LBB4_1240:                             ;   in Loop: Header=BB4_1156 Depth=2
	s_delay_alu instid0(SALU_CYCLE_1) | instskip(SKIP_4) | instid1(VALU_DEP_2)
	s_or_b32 exec_lo, exec_lo, s14
	v_lshlrev_b32_e32 v10, 11, v2
	v_mov_b32_e32 v2, 0
	s_mov_b32 s13, 0
	s_mov_b32 s38, exec_lo
                                        ; implicit-def: $vgpr18
                                        ; implicit-def: $vgpr19
                                        ; implicit-def: $vgpr22
	v_cmpx_ne_u32_e64 v17, v10
	s_cbranch_execz .LBB4_1249
; %bb.1241:                             ;   in Loop: Header=BB4_1156 Depth=2
	v_lshlrev_b32_e32 v2, 5, v20
	v_sub_nc_u32_e32 v9, v17, v10
	s_mov_b32 s39, exec_lo
	s_delay_alu instid0(VALU_DEP_2) | instskip(NEXT) | instid1(VALU_DEP_2)
	v_sub_nc_u32_e32 v2, v100, v2
	v_ashrrev_i32_e32 v11, 31, v9
	s_delay_alu instid0(VALU_DEP_2) | instskip(NEXT) | instid1(VALU_DEP_2)
	v_ashrrev_i32_e32 v8, 31, v2
	v_lshrrev_b32_e32 v11, 23, v11
	s_delay_alu instid0(VALU_DEP_2) | instskip(NEXT) | instid1(VALU_DEP_2)
	v_lshrrev_b32_e32 v8, 27, v8
	v_add_nc_u32_e32 v19, v9, v11
	s_delay_alu instid0(VALU_DEP_2) | instskip(NEXT) | instid1(VALU_DEP_2)
	v_add_nc_u32_e32 v8, v2, v8
	v_and_b32_e32 v11, 0xfffffe00, v19
	v_ashrrev_i32_e32 v19, 9, v19
	s_delay_alu instid0(VALU_DEP_3) | instskip(NEXT) | instid1(VALU_DEP_3)
	v_and_b32_e32 v18, 0xffffffe0, v8
	v_sub_nc_u32_e32 v21, v9, v11
	v_ashrrev_i32_e32 v8, 5, v8
	s_delay_alu instid0(VALU_DEP_3) | instskip(NEXT) | instid1(VALU_DEP_3)
	v_sub_nc_u32_e32 v20, v2, v18
	v_cmp_lt_i32_e32 vcc_lo, 15, v21
	s_delay_alu instid0(VALU_DEP_2) | instskip(SKIP_1) | instid1(VALU_DEP_2)
	v_lshlrev_b32_e32 v2, 4, v20
	v_add_co_ci_u32_e64 v19, s13, 0, v19, vcc_lo
	v_lshl_add_u32 v18, v8, 9, v2
	s_delay_alu instid0(VALU_DEP_2) | instskip(NEXT) | instid1(VALU_DEP_2)
	v_sub_nc_u32_e32 v23, v19, v8
	v_sub_nc_u32_e32 v2, v9, v18
	s_delay_alu instid0(VALU_DEP_1)
	v_cmpx_lt_i32_e32 15, v2
	s_cbranch_execz .LBB4_1246
; %bb.1242:                             ;   in Loop: Header=BB4_1156 Depth=2
	s_cbranch_execnz .LBB4_1854
; %bb.1243:                             ;   in Loop: Header=BB4_1156 Depth=2
	ds_load_b64 v[8:9], v0
	v_add_nc_u32_e32 v18, v18, v10
	s_mov_b32 s40, 0
	s_delay_alu instid0(VALU_DEP_1)
	v_ashrrev_i32_e32 v19, 31, v18
.LBB4_1244:                             ;   Parent Loop BB4_51 Depth=1
                                        ;     Parent Loop BB4_1156 Depth=2
                                        ; =>    This Inner Loop Header: Depth=3
	s_waitcnt lgkmcnt(0)
	v_add_co_u32 v70, s13, v8, v18
	s_delay_alu instid0(VALU_DEP_1)
	v_add_co_ci_u32_e64 v71, s13, v9, v19, s13
	v_sub_nc_u32_e32 v2, v2, v101
	v_add_co_u32 v18, s14, v18, v117
	global_load_b128 v[66:69], v[70:71], off slc dlc
	v_sub_nc_u32_e32 v23, v23, v97
	v_cmp_gt_i32_e64 s13, 16, v2
	v_add_co_ci_u32_e64 v19, s14, v19, v118, s14
	s_delay_alu instid0(VALU_DEP_2)
	s_or_b32 s40, s13, s40
	s_waitcnt vmcnt(0)
	global_store_b128 v[70:71], v[66:69], off glc slc dlc
	s_and_not1_b32 exec_lo, exec_lo, s40
	s_cbranch_execnz .LBB4_1244
; %bb.1245:                             ;   in Loop: Header=BB4_1156 Depth=2
	s_or_b32 exec_lo, exec_lo, s40
.LBB4_1246:                             ;   in Loop: Header=BB4_1156 Depth=2
	s_delay_alu instid0(SALU_CYCLE_1) | instskip(SKIP_4) | instid1(VALU_DEP_2)
	s_or_b32 exec_lo, exec_lo, s39
	v_and_b32_e32 v8, 15, v17
	v_mov_b32_e32 v2, 0
	s_mov_b32 s14, 0
	s_mov_b32 s39, exec_lo
                                        ; implicit-def: $vgpr19
                                        ; implicit-def: $vgpr22
	v_cndmask_b32_e32 v18, v21, v8, vcc_lo
	s_delay_alu instid0(VALU_DEP_1)
	v_cmpx_ne_u32_e32 0, v18
; %bb.1247:                             ;   in Loop: Header=BB4_1156 Depth=2
	v_cmp_lt_i32_e64 s13, 0, v23
	v_sub_nc_u32_e32 v8, v21, v8
	s_mov_b32 s14, exec_lo
	s_delay_alu instid0(VALU_DEP_2) | instskip(NEXT) | instid1(VALU_DEP_1)
	v_cndmask_b32_e64 v2, 0, v97, s13
	v_sub_nc_u32_e32 v2, v2, v23
	s_delay_alu instid0(VALU_DEP_1) | instskip(NEXT) | instid1(VALU_DEP_1)
	v_lshl_add_u32 v19, v2, 5, v20
	v_ashrrev_i32_e32 v2, 31, v19
	s_delay_alu instid0(VALU_DEP_1) | instskip(NEXT) | instid1(VALU_DEP_1)
	v_lshrrev_b32_e32 v2, 27, v2
	v_dual_cndmask_b32 v8, 0, v8 :: v_dual_add_nc_u32 v9, v19, v2
	s_delay_alu instid0(VALU_DEP_1) | instskip(NEXT) | instid1(VALU_DEP_2)
	v_add3_u32 v2, v11, v10, v8
	v_ashrrev_i32_e32 v22, 5, v9
; %bb.1248:                             ;   in Loop: Header=BB4_1156 Depth=2
	s_or_b32 exec_lo, exec_lo, s39
	s_delay_alu instid0(SALU_CYCLE_1)
	s_and_b32 s13, s14, exec_lo
.LBB4_1249:                             ;   in Loop: Header=BB4_1156 Depth=2
	s_or_b32 exec_lo, exec_lo, s38
.LBB4_1250:                             ;   in Loop: Header=BB4_1156 Depth=2
	s_and_saveexec_b32 s14, s13
	s_cbranch_execz .LBB4_1262
; %bb.1251:                             ;   in Loop: Header=BB4_1156 Depth=2
	s_delay_alu instid0(VALU_DEP_1) | instskip(SKIP_1) | instid1(VALU_DEP_1)
	v_ashrrev_i32_e32 v8, 31, v18
	s_mov_b32 s13, exec_lo
	v_lshrrev_b32_e32 v8, 23, v8
	s_delay_alu instid0(VALU_DEP_1) | instskip(NEXT) | instid1(VALU_DEP_1)
	v_add_nc_u32_e32 v8, v18, v8
	v_ashrrev_i32_e32 v21, 9, v8
	s_delay_alu instid0(VALU_DEP_1) | instskip(NEXT) | instid1(VALU_DEP_1)
	v_sub_nc_u32_e32 v20, v21, v22
	v_cmpx_lt_i32_e32 0, v20
	s_cbranch_execz .LBB4_1256
; %bb.1252:                             ;   in Loop: Header=BB4_1156 Depth=2
	s_cbranch_execnz .LBB4_1792
; %bb.1253:                             ;   in Loop: Header=BB4_1156 Depth=2
	v_ashrrev_i32_e32 v8, 31, v19
	s_mov_b32 s38, 0
	s_delay_alu instid0(VALU_DEP_1) | instskip(NEXT) | instid1(VALU_DEP_1)
	v_lshrrev_b32_e32 v8, 27, v8
	v_add_nc_u32_e32 v10, v19, v8
	ds_load_b64 v[8:9], v0
	v_lshlrev_b32_e32 v11, 9, v22
	v_and_b32_e32 v10, 0xffffffe0, v10
	s_delay_alu instid0(VALU_DEP_1) | instskip(NEXT) | instid1(VALU_DEP_1)
	v_sub_nc_u32_e32 v10, v19, v10
	v_add3_u32 v22, v2, v10, v11
	s_delay_alu instid0(VALU_DEP_1)
	v_ashrrev_i32_e32 v23, 31, v22
	s_waitcnt lgkmcnt(0)
	v_dual_mov_b32 v11, v9 :: v_dual_mov_b32 v10, v8
.LBB4_1254:                             ;   Parent Loop BB4_51 Depth=1
                                        ;     Parent Loop BB4_1156 Depth=2
                                        ; =>    This Inner Loop Header: Depth=3
	s_delay_alu instid0(VALU_DEP_1) | instskip(NEXT) | instid1(VALU_DEP_2)
	v_add_co_u32 v66, vcc_lo, v22, v10
	v_add_co_ci_u32_e32 v67, vcc_lo, v23, v11, vcc_lo
	v_sub_nc_u32_e32 v20, v20, v97
	s_clause 0xf
	flat_load_u8 v68, v[66:67] slc dlc
	flat_load_u8 v69, v[66:67] offset:32 slc dlc
	flat_load_u8 v70, v[66:67] offset:64 slc dlc
	;; [unrolled: 1-line block ×15, first 2 shown]
	v_add_co_u32 v66, vcc_lo, v22, v8
	v_add_co_ci_u32_e32 v67, vcc_lo, v23, v9, vcc_lo
	v_add_co_u32 v10, vcc_lo, v10, v117
	v_add_co_ci_u32_e32 v11, vcc_lo, v11, v118, vcc_lo
	;; [unrolled: 2-line block ×3, first 2 shown]
	v_cmp_gt_i32_e32 vcc_lo, 1, v20
	s_waitcnt vmcnt(15) lgkmcnt(15)
	flat_store_b8 v[66:67], v68 glc slc dlc
	s_waitcnt vmcnt(14) lgkmcnt(15)
	flat_store_b8 v[66:67], v69 offset:32 glc slc dlc
	s_waitcnt vmcnt(13) lgkmcnt(15)
	flat_store_b8 v[66:67], v70 offset:64 glc slc dlc
	s_waitcnt vmcnt(12) lgkmcnt(15)
	flat_store_b8 v[66:67], v71 offset:96 glc slc dlc
	s_waitcnt vmcnt(11) lgkmcnt(15)
	flat_store_b8 v[66:67], v80 offset:128 glc slc dlc
	s_waitcnt vmcnt(10) lgkmcnt(15)
	flat_store_b8 v[66:67], v81 offset:160 glc slc dlc
	s_waitcnt vmcnt(9) lgkmcnt(15)
	flat_store_b8 v[66:67], v82 offset:192 glc slc dlc
	s_waitcnt vmcnt(8) lgkmcnt(15)
	flat_store_b8 v[66:67], v83 offset:224 glc slc dlc
	s_waitcnt vmcnt(7) lgkmcnt(15)
	flat_store_b8 v[66:67], v84 offset:256 glc slc dlc
	s_waitcnt vmcnt(6) lgkmcnt(15)
	flat_store_b8 v[66:67], v85 offset:288 glc slc dlc
	s_waitcnt vmcnt(5) lgkmcnt(15)
	flat_store_b8 v[66:67], v135 offset:320 glc slc dlc
	s_waitcnt vmcnt(4) lgkmcnt(15)
	flat_store_b8 v[66:67], v144 offset:352 glc slc dlc
	s_waitcnt vmcnt(3) lgkmcnt(15)
	flat_store_b8 v[66:67], v145 offset:384 glc slc dlc
	s_waitcnt vmcnt(2) lgkmcnt(15)
	flat_store_b8 v[66:67], v146 offset:416 glc slc dlc
	s_waitcnt vmcnt(1) lgkmcnt(15)
	flat_store_b8 v[66:67], v147 offset:448 glc slc dlc
	s_waitcnt vmcnt(0) lgkmcnt(15)
	flat_store_b8 v[66:67], v148 offset:480 glc slc dlc
	s_or_b32 s38, vcc_lo, s38
	s_delay_alu instid0(SALU_CYCLE_1)
	s_and_not1_b32 exec_lo, exec_lo, s38
	s_cbranch_execnz .LBB4_1254
; %bb.1255:                             ;   in Loop: Header=BB4_1156 Depth=2
	s_or_b32 exec_lo, exec_lo, s38
.LBB4_1256:                             ;   in Loop: Header=BB4_1156 Depth=2
	s_delay_alu instid0(SALU_CYCLE_1) | instskip(SKIP_2) | instid1(VALU_DEP_1)
	s_or_b32 exec_lo, exec_lo, s13
	v_lshlrev_b32_e32 v8, 9, v21
	s_mov_b32 s38, exec_lo
	v_cmpx_ne_u32_e64 v18, v8
	s_cbranch_execz .LBB4_1261
; %bb.1257:                             ;   in Loop: Header=BB4_1156 Depth=2
	v_ashrrev_i32_e32 v9, 31, v19
	v_lshlrev_b32_e32 v10, 5, v20
	s_delay_alu instid0(VALU_DEP_2) | instskip(NEXT) | instid1(VALU_DEP_1)
	v_lshrrev_b32_e32 v9, 27, v9
	v_add_nc_u32_e32 v9, v19, v9
	s_delay_alu instid0(VALU_DEP_1) | instskip(NEXT) | instid1(VALU_DEP_1)
	v_and_b32_e32 v9, 0xffffffe0, v9
	v_sub_nc_u32_e32 v9, v19, v9
	s_delay_alu instid0(VALU_DEP_1) | instskip(NEXT) | instid1(VALU_DEP_1)
	v_sub_nc_u32_e32 v9, v9, v10
	v_add_nc_u32_e32 v11, v8, v9
	s_delay_alu instid0(VALU_DEP_1) | instskip(NEXT) | instid1(VALU_DEP_1)
	v_sub_nc_u32_e32 v10, v18, v11
	v_cmp_lt_i32_e32 vcc_lo, 0, v10
	s_and_b32 exec_lo, exec_lo, vcc_lo
	s_cbranch_execz .LBB4_1261
; %bb.1258:                             ;   in Loop: Header=BB4_1156 Depth=2
	s_cbranch_execnz .LBB4_1848
; %bb.1259:                             ;   in Loop: Header=BB4_1156 Depth=2
	ds_load_b64 v[8:9], v0
	v_add_nc_u32_e32 v2, v11, v2
	s_mov_b32 s39, 0
	s_delay_alu instid0(VALU_DEP_1)
	v_ashrrev_i32_e32 v11, 31, v2
.LBB4_1260:                             ;   Parent Loop BB4_51 Depth=1
                                        ;     Parent Loop BB4_1156 Depth=2
                                        ; =>    This Inner Loop Header: Depth=3
	s_waitcnt lgkmcnt(0)
	v_add_co_u32 v18, vcc_lo, v8, v2
	s_delay_alu instid0(VALU_DEP_2)
	v_add_co_ci_u32_e32 v19, vcc_lo, v9, v11, vcc_lo
	v_sub_nc_u32_e32 v10, v10, v98
	v_add_co_u32 v2, s13, v2, v128
	flat_load_u8 v20, v[18:19] slc dlc
	v_add_co_ci_u32_e64 v11, s13, v11, v129, s13
	v_cmp_gt_i32_e32 vcc_lo, 1, v10
	s_or_b32 s39, vcc_lo, s39
	s_waitcnt vmcnt(0) lgkmcnt(0)
	flat_store_b8 v[18:19], v20 glc slc dlc
	s_and_not1_b32 exec_lo, exec_lo, s39
	s_cbranch_execnz .LBB4_1260
.LBB4_1261:                             ;   in Loop: Header=BB4_1156 Depth=2
	s_or_b32 exec_lo, exec_lo, s38
.LBB4_1262:                             ;   in Loop: Header=BB4_1156 Depth=2
	s_delay_alu instid0(SALU_CYCLE_1)
	s_or_b32 exec_lo, exec_lo, s14
.LBB4_1263:                             ;   in Loop: Header=BB4_1156 Depth=2
	s_and_saveexec_b32 s13, s3
	s_cbranch_execz .LBB4_1285
; %bb.1264:                             ;   in Loop: Header=BB4_1156 Depth=2
	s_and_saveexec_b32 s14, s4
	s_delay_alu instid0(SALU_CYCLE_1)
	s_xor_b32 s14, exec_lo, s14
	s_cbranch_execz .LBB4_1282
; %bb.1265:                             ;   in Loop: Header=BB4_1156 Depth=2
	s_and_saveexec_b32 s38, s1
	s_cbranch_execz .LBB4_1281
; %bb.1266:                             ;   in Loop: Header=BB4_1156 Depth=2
	s_mov_b32 s40, exec_lo
	s_mov_b32 s39, exec_lo
	v_mbcnt_lo_u32_b32 v2, s40, 0
	s_waitcnt lgkmcnt(0)
	s_waitcnt_vscnt null, 0x0
	buffer_gl1_inv
	buffer_gl0_inv
	v_cmpx_eq_u32_e32 0, v2
	s_cbranch_execz .LBB4_1268
; %bb.1267:                             ;   in Loop: Header=BB4_1156 Depth=2
	s_bcnt1_i32_b32 vcc_lo, s40
	s_delay_alu instid0(SALU_CYCLE_1)
	v_mov_b32_e32 v2, vcc_lo
	ds_add_u64 v0, v[2:3]
	s_cbranch_execnz .LBB4_1834
.LBB4_1268:                             ;   in Loop: Header=BB4_1156 Depth=2
	s_or_b32 exec_lo, exec_lo, s39
	s_cbranch_execnz .LBB4_1810
; %bb.1269:                             ;   in Loop: Header=BB4_1156 Depth=2
	ds_load_b64 v[8:9], v0
	v_add_co_u32 v48, vcc_lo, v48, v97
	v_add_co_ci_u32_e32 v49, vcc_lo, 0, v49, vcc_lo
	s_mov_b32 s39, exec_lo
	s_waitcnt lgkmcnt(0)
	s_delay_alu instid0(VALU_DEP_1)
	v_cmpx_lt_u64_e64 v[8:9], v[48:49]
	s_cbranch_execz .LBB4_1280
; %bb.1270:                             ;   in Loop: Header=BB4_1156 Depth=2
	s_mov_b32 s40, 0
	s_mov_b32 s43, 0
                                        ; implicit-def: $sgpr41
                                        ; implicit-def: $sgpr42
	s_branch .LBB4_1272
.LBB4_1271:                             ;   in Loop: Header=BB4_1272 Depth=3
	s_or_b32 exec_lo, exec_lo, s45
	s_delay_alu instid0(SALU_CYCLE_1) | instskip(NEXT) | instid1(SALU_CYCLE_1)
	s_and_b32 vcc_lo, exec_lo, vcc_lo
	s_or_b32 s40, vcc_lo, s40
	s_and_not1_b32 vcc_lo, s41, exec_lo
	s_and_b32 s41, s42, exec_lo
	s_delay_alu instid0(SALU_CYCLE_1)
	s_or_b32 s41, vcc_lo, s41
	s_and_not1_b32 exec_lo, exec_lo, s40
	s_cbranch_execz .LBB4_1278
.LBB4_1272:                             ;   Parent Loop BB4_51 Depth=1
                                        ;     Parent Loop BB4_1156 Depth=2
                                        ; =>    This Inner Loop Header: Depth=3
	s_add_i32 s43, s43, 1
                                        ; implicit-def: $sgpr45
	s_delay_alu instid0(SALU_CYCLE_1) | instskip(SKIP_1) | instid1(SALU_CYCLE_1)
	s_cmpk_lg_i32 s43, 0x2710
	s_cselect_b32 s44, -1, 0
	s_and_b32 vcc_lo, exec_lo, s44
	s_cbranch_vccz .LBB4_1276
.LBB4_1273:                             ;   in Loop: Header=BB4_1272 Depth=3
	s_and_not1_b32 s42, s42, exec_lo
	s_and_b32 s45, s45, exec_lo
	s_mov_b32 vcc_lo, -1
	s_or_b32 s42, s42, s45
	s_and_saveexec_b32 s45, s44
	s_cbranch_execz .LBB4_1271
; %bb.1274:                             ;   in Loop: Header=BB4_1272 Depth=3
	s_sleep 1
	s_cbranch_execnz .LBB4_1868
; %bb.1275:                             ;   in Loop: Header=BB4_1272 Depth=3
	ds_load_b64 v[8:9], v0
	s_and_not1_b32 s42, s42, exec_lo
	s_waitcnt lgkmcnt(0)
	v_cmp_ge_u64_e32 vcc_lo, v[8:9], v[48:49]
	s_or_not1_b32 vcc_lo, vcc_lo, exec_lo
	s_branch .LBB4_1271
.LBB4_1276:                             ;   in Loop: Header=BB4_1272 Depth=3
	s_cbranch_execnz .LBB4_1878
; %bb.1277:                             ;   in Loop: Header=BB4_1272 Depth=3
	ds_load_b64 v[8:9], v0
	s_and_not1_b32 s44, s44, exec_lo
	s_mov_b32 s43, 0
	s_mov_b32 s45, -1
	s_waitcnt lgkmcnt(0)
	flat_load_b32 v2, v[8:9] glc
	s_waitcnt vmcnt(0) lgkmcnt(0)
	buffer_gl1_inv
	buffer_gl0_inv
	v_cmp_eq_u32_e32 vcc_lo, 0, v2
	s_and_b32 vcc_lo, vcc_lo, exec_lo
	s_delay_alu instid0(SALU_CYCLE_1)
	s_or_b32 s44, s44, vcc_lo
	s_branch .LBB4_1273
.LBB4_1278:                             ;   in Loop: Header=BB4_1156 Depth=2
	s_or_b32 exec_lo, exec_lo, s40
	s_and_saveexec_b32 vcc_lo, s41
	s_delay_alu instid0(SALU_CYCLE_1)
	s_xor_b32 vcc_lo, exec_lo, vcc_lo
	s_cbranch_execz .LBB4_1280
; %bb.1279:                             ;   in Loop: Header=BB4_1156 Depth=2
	ds_store_b32 v0, v134
	s_cbranch_execnz .LBB4_1932
.LBB4_1280:                             ;   in Loop: Header=BB4_1156 Depth=2
	s_or_b32 exec_lo, exec_lo, s39
	;;#ASMSTART
	s_wakeup
	;;#ASMEND
.LBB4_1281:                             ;   in Loop: Header=BB4_1156 Depth=2
	s_or_b32 exec_lo, exec_lo, s38
.LBB4_1282:                             ;   in Loop: Header=BB4_1156 Depth=2
	s_and_not1_saveexec_b32 s14, s14
	s_cbranch_execz .LBB4_1284
; %bb.1283:                             ;   in Loop: Header=BB4_1156 Depth=2
	s_waitcnt lgkmcnt(0)
	s_waitcnt_vscnt null, 0x0
	buffer_gl1_inv
	buffer_gl0_inv
	s_barrier
.LBB4_1284:                             ;   in Loop: Header=BB4_1156 Depth=2
	s_or_b32 exec_lo, exec_lo, s14
.LBB4_1285:                             ;   in Loop: Header=BB4_1156 Depth=2
	s_delay_alu instid0(SALU_CYCLE_1) | instskip(SKIP_1) | instid1(SALU_CYCLE_1)
	s_or_b32 exec_lo, exec_lo, s13
	s_and_saveexec_b32 s13, s7
	s_xor_b32 s14, exec_lo, s13
	s_cbranch_execz .LBB4_1289
; %bb.1286:                             ;   in Loop: Header=BB4_1156 Depth=2
	v_and_b32_e32 v2, 16, v30
	v_cmp_lt_i32_e32 vcc_lo, 0, v17
	s_delay_alu instid0(VALU_DEP_2) | instskip(NEXT) | instid1(VALU_DEP_1)
	v_cmp_ne_u32_e64 s13, 0, v2
	s_and_b32 vcc_lo, s13, vcc_lo
	s_delay_alu instid0(SALU_CYCLE_1)
	s_and_saveexec_b32 s13, vcc_lo
	s_cbranch_execz .LBB4_1288
; %bb.1287:                             ;   in Loop: Header=BB4_1156 Depth=2
	s_waitcnt lgkmcnt(0)
	s_waitcnt_vscnt null, 0x0
	buffer_gl1_inv
	buffer_gl0_inv
.LBB4_1288:                             ;   in Loop: Header=BB4_1156 Depth=2
	s_or_b32 exec_lo, exec_lo, s13
.LBB4_1289:                             ;   in Loop: Header=BB4_1156 Depth=2
	s_and_not1_saveexec_b32 s13, s14
	s_cbranch_execz .LBB4_1311
; %bb.1290:                             ;   in Loop: Header=BB4_1156 Depth=2
	s_and_saveexec_b32 s14, s4
	s_delay_alu instid0(SALU_CYCLE_1)
	s_xor_b32 s14, exec_lo, s14
	s_cbranch_execz .LBB4_1308
; %bb.1291:                             ;   in Loop: Header=BB4_1156 Depth=2
	s_and_saveexec_b32 s38, s1
	s_cbranch_execz .LBB4_1307
; %bb.1292:                             ;   in Loop: Header=BB4_1156 Depth=2
	s_mov_b32 s40, exec_lo
	s_mov_b32 s39, exec_lo
	v_mbcnt_lo_u32_b32 v2, s40, 0
	;;#ASMSTART
	s_waitcnt lgkmcnt(0) vmcnt(0)
	;;#ASMEND
	s_delay_alu instid0(VALU_DEP_1)
	v_cmpx_eq_u32_e32 0, v2
	s_cbranch_execz .LBB4_1294
; %bb.1293:                             ;   in Loop: Header=BB4_1156 Depth=2
	s_bcnt1_i32_b32 vcc_lo, s40
	s_delay_alu instid0(SALU_CYCLE_1)
	v_mov_b32_e32 v2, vcc_lo
	ds_add_u64 v0, v[2:3]
	s_cbranch_execnz .LBB4_1840
.LBB4_1294:                             ;   in Loop: Header=BB4_1156 Depth=2
	s_or_b32 exec_lo, exec_lo, s39
	s_cbranch_execnz .LBB4_1820
; %bb.1295:                             ;   in Loop: Header=BB4_1156 Depth=2
	ds_load_b64 v[8:9], v0
	v_add_co_u32 v48, vcc_lo, v48, v97
	v_add_co_ci_u32_e32 v49, vcc_lo, 0, v49, vcc_lo
	s_mov_b32 s39, exec_lo
	s_waitcnt lgkmcnt(0)
	s_delay_alu instid0(VALU_DEP_1)
	v_cmpx_lt_u64_e64 v[8:9], v[48:49]
	s_cbranch_execz .LBB4_1306
; %bb.1296:                             ;   in Loop: Header=BB4_1156 Depth=2
	s_mov_b32 s40, 0
	s_mov_b32 s43, 0
                                        ; implicit-def: $sgpr41
                                        ; implicit-def: $sgpr42
	s_branch .LBB4_1298
.LBB4_1297:                             ;   in Loop: Header=BB4_1298 Depth=3
	s_or_b32 exec_lo, exec_lo, s45
	s_delay_alu instid0(SALU_CYCLE_1) | instskip(NEXT) | instid1(SALU_CYCLE_1)
	s_and_b32 vcc_lo, exec_lo, vcc_lo
	s_or_b32 s40, vcc_lo, s40
	s_and_not1_b32 vcc_lo, s41, exec_lo
	s_and_b32 s41, s42, exec_lo
	s_delay_alu instid0(SALU_CYCLE_1)
	s_or_b32 s41, vcc_lo, s41
	s_and_not1_b32 exec_lo, exec_lo, s40
	s_cbranch_execz .LBB4_1304
.LBB4_1298:                             ;   Parent Loop BB4_51 Depth=1
                                        ;     Parent Loop BB4_1156 Depth=2
                                        ; =>    This Inner Loop Header: Depth=3
	s_add_i32 s43, s43, 1
                                        ; implicit-def: $sgpr45
	s_delay_alu instid0(SALU_CYCLE_1) | instskip(SKIP_1) | instid1(SALU_CYCLE_1)
	s_cmpk_lg_i32 s43, 0x2710
	s_cselect_b32 s44, -1, 0
	s_and_b32 vcc_lo, exec_lo, s44
	s_cbranch_vccnz .LBB4_1301
; %bb.1299:                             ;   in Loop: Header=BB4_1298 Depth=3
	s_cbranch_execnz .LBB4_1886
; %bb.1300:                             ;   in Loop: Header=BB4_1298 Depth=3
	ds_load_b64 v[8:9], v0
	s_and_not1_b32 s44, s44, exec_lo
	s_mov_b32 s43, 0
	s_mov_b32 s45, -1
	s_waitcnt lgkmcnt(0)
	s_waitcnt_vscnt null, 0x0
	flat_load_b32 v2, v[8:9] glc
	s_waitcnt vmcnt(0) lgkmcnt(0)
	buffer_gl1_inv
	buffer_gl0_inv
	v_cmp_eq_u32_e32 vcc_lo, 0, v2
	s_and_b32 vcc_lo, vcc_lo, exec_lo
	s_delay_alu instid0(SALU_CYCLE_1)
	s_or_b32 s44, s44, vcc_lo
.LBB4_1301:                             ;   in Loop: Header=BB4_1298 Depth=3
	s_and_not1_b32 s42, s42, exec_lo
	s_and_b32 s45, s45, exec_lo
	s_mov_b32 vcc_lo, -1
	s_or_b32 s42, s42, s45
	s_and_saveexec_b32 s45, s44
	s_cbranch_execz .LBB4_1297
; %bb.1302:                             ;   in Loop: Header=BB4_1298 Depth=3
	s_sleep 1
	s_cbranch_execnz .LBB4_1872
; %bb.1303:                             ;   in Loop: Header=BB4_1298 Depth=3
	ds_load_b64 v[8:9], v0
	s_and_not1_b32 s42, s42, exec_lo
	s_waitcnt lgkmcnt(0)
	v_cmp_ge_u64_e32 vcc_lo, v[8:9], v[48:49]
	s_or_not1_b32 vcc_lo, vcc_lo, exec_lo
	s_branch .LBB4_1297
.LBB4_1304:                             ;   in Loop: Header=BB4_1156 Depth=2
	s_or_b32 exec_lo, exec_lo, s40
	s_and_saveexec_b32 vcc_lo, s41
	s_delay_alu instid0(SALU_CYCLE_1)
	s_xor_b32 vcc_lo, exec_lo, vcc_lo
	s_cbranch_execz .LBB4_1306
; %bb.1305:                             ;   in Loop: Header=BB4_1156 Depth=2
	ds_store_b32 v0, v134
	s_cbranch_execnz .LBB4_1934
.LBB4_1306:                             ;   in Loop: Header=BB4_1156 Depth=2
	s_or_b32 exec_lo, exec_lo, s39
	;;#ASMSTART
	s_wakeup
	;;#ASMEND
.LBB4_1307:                             ;   in Loop: Header=BB4_1156 Depth=2
	s_or_b32 exec_lo, exec_lo, s38
.LBB4_1308:                             ;   in Loop: Header=BB4_1156 Depth=2
	s_and_not1_saveexec_b32 s14, s14
	s_cbranch_execz .LBB4_1310
; %bb.1309:                             ;   in Loop: Header=BB4_1156 Depth=2
	;;#ASMSTART
	s_waitcnt lgkmcnt(0) vmcnt(0)
	;;#ASMEND
	s_waitcnt lgkmcnt(0)
	s_waitcnt_vscnt null, 0x0
	s_barrier
.LBB4_1310:                             ;   in Loop: Header=BB4_1156 Depth=2
	s_or_b32 exec_lo, exec_lo, s14
.LBB4_1311:                             ;   in Loop: Header=BB4_1156 Depth=2
	s_delay_alu instid0(SALU_CYCLE_1) | instskip(SKIP_2) | instid1(VALU_DEP_1)
	s_or_b32 exec_lo, exec_lo, s13
	v_and_b32_e32 v2, 32, v30
	s_mov_b32 s13, exec_lo
	v_cmpx_ne_u32_e32 0, v2
	s_cbranch_execz .LBB4_1313
; %bb.1312:                             ;   in Loop: Header=BB4_1156 Depth=2
	v_add_co_u32 v34, vcc_lo, v34, 2
	v_add_co_ci_u32_e32 v35, vcc_lo, 0, v35, vcc_lo
	s_waitcnt lgkmcnt(0)
	s_waitcnt_vscnt null, 0x0
	flat_store_b64 v[32:33], v[34:35]
.LBB4_1313:                             ;   in Loop: Header=BB4_1156 Depth=2
	s_or_b32 exec_lo, exec_lo, s13
	v_add_nc_u32_e32 v14, v13, v14
	s_xor_b32 s13, s17, -1
	v_mov_b32_e32 v2, s37
	s_mov_b32 s17, 0
	s_mov_b32 s37, 2
	v_cmp_ge_i32_e32 vcc_lo, v14, v12
	s_or_b32 s13, s13, vcc_lo
	s_delay_alu instid0(SALU_CYCLE_1) | instskip(NEXT) | instid1(SALU_CYCLE_1)
	s_and_b32 s13, exec_lo, s13
	s_or_b32 s16, s13, s16
	s_delay_alu instid0(SALU_CYCLE_1)
	s_and_not1_b32 exec_lo, exec_lo, s16
	s_cbranch_execnz .LBB4_1156
; %bb.1314:                             ;   in Loop: Header=BB4_51 Depth=1
	s_or_b32 exec_lo, exec_lo, s16
.LBB4_1315:                             ;   in Loop: Header=BB4_51 Depth=1
	s_delay_alu instid0(SALU_CYCLE_1) | instskip(NEXT) | instid1(SALU_CYCLE_1)
	s_or_b32 exec_lo, exec_lo, s15
	s_mov_b32 s14, exec_lo
	v_cmpx_gt_i32_e32 2, v2
	s_cbranch_execz .LBB4_1394
; %bb.1316:                             ;   in Loop: Header=BB4_51 Depth=1
	v_cmp_eq_u32_e64 s13, 0, v2
	s_mov_b32 s15, 0
.LBB4_1317:                             ;   Parent Loop BB4_51 Depth=1
                                        ; =>  This Loop Header: Depth=2
                                        ;       Child Loop BB4_1323 Depth 3
                                        ;       Child Loop BB4_1350 Depth 3
	;; [unrolled: 1-line block ×3, first 2 shown]
	v_and_b32_e32 v2, 4, v30
	s_mov_b32 s17, -1
	s_mov_b32 s16, exec_lo
	s_delay_alu instid0(VALU_DEP_1)
	v_cmpx_ne_u32_e32 0, v2
	s_cbranch_execz .LBB4_1331
; %bb.1318:                             ;   in Loop: Header=BB4_1317 Depth=2
	v_add_co_u32 v8, vcc_lo, v34, 2
	v_add_co_ci_u32_e32 v9, vcc_lo, 0, v35, vcc_lo
	v_mov_b32_e32 v2, 1
	s_mov_b32 s17, exec_lo
	s_delay_alu instid0(VALU_DEP_2)
	v_cmpx_lt_u64_e64 v[50:51], v[8:9]
	s_cbranch_execz .LBB4_1330
; %bb.1319:                             ;   in Loop: Header=BB4_1317 Depth=2
	v_mov_b32_e32 v2, 0
	s_mov_b32 s37, 0
                                        ; implicit-def: $sgpr38
	s_branch .LBB4_1323
.LBB4_1320:                             ;   in Loop: Header=BB4_1323 Depth=3
	s_or_b32 exec_lo, exec_lo, s42
	v_mov_b32_e32 v10, 0
	s_or_not1_b32 s41, s41, exec_lo
.LBB4_1321:                             ;   in Loop: Header=BB4_1323 Depth=3
	s_or_b32 exec_lo, exec_lo, s40
	s_delay_alu instid0(VALU_DEP_1) | instskip(SKIP_2) | instid1(SALU_CYCLE_1)
	v_mov_b32_e32 v2, v10
	s_and_not1_b32 vcc_lo, s38, exec_lo
	s_and_b32 s38, s41, exec_lo
	s_or_b32 s38, vcc_lo, s38
.LBB4_1322:                             ;   in Loop: Header=BB4_1323 Depth=3
	s_or_b32 exec_lo, exec_lo, s39
	s_waitcnt vmcnt(0) lgkmcnt(0)
	v_cmp_ge_u64_e32 vcc_lo, v[50:51], v[8:9]
	s_xor_b32 s39, s38, -1
	s_delay_alu instid0(SALU_CYCLE_1) | instskip(NEXT) | instid1(SALU_CYCLE_1)
	s_or_b32 vcc_lo, s39, vcc_lo
	s_and_b32 vcc_lo, exec_lo, vcc_lo
	s_delay_alu instid0(SALU_CYCLE_1) | instskip(NEXT) | instid1(SALU_CYCLE_1)
	s_or_b32 s37, vcc_lo, s37
	s_and_not1_b32 exec_lo, exec_lo, s37
	s_cbranch_execz .LBB4_1329
.LBB4_1323:                             ;   Parent Loop BB4_51 Depth=1
                                        ;     Parent Loop BB4_1317 Depth=2
                                        ; =>    This Inner Loop Header: Depth=3
	s_sleep 1
	flat_load_b64 v[50:51], v[32:33] glc
	v_and_b32_e32 v10, 64, v30
	s_and_not1_b32 s38, s38, exec_lo
	s_mov_b32 s39, exec_lo
	s_delay_alu instid0(VALU_DEP_1)
	v_cmpx_eq_u32_e32 0, v10
	s_cbranch_execz .LBB4_1322
; %bb.1324:                             ;   in Loop: Header=BB4_1323 Depth=3
	v_add_nc_u32_e32 v10, 1, v2
	s_mov_b32 s41, -1
	s_mov_b32 s40, exec_lo
	v_cmpx_lt_i32_e32 0x270e, v2
	s_cbranch_execz .LBB4_1321
; %bb.1325:                             ;   in Loop: Header=BB4_1323 Depth=3
	s_cbranch_execnz .LBB4_1606
; %bb.1326:                             ;   in Loop: Header=BB4_1323 Depth=3
	ds_load_b64 v[10:11], v0
	s_mov_b32 s42, exec_lo
	s_waitcnt vmcnt(0) lgkmcnt(0)
	s_waitcnt_vscnt null, 0x0
	flat_load_b32 v2, v[10:11] glc
	s_waitcnt vmcnt(0) lgkmcnt(0)
	buffer_gl1_inv
	buffer_gl0_inv
	v_cmpx_ne_u32_e32 0, v2
	s_cbranch_execz .LBB4_1320
; %bb.1327:                             ;   in Loop: Header=BB4_1323 Depth=3
	ds_store_b32 v0, v2
	s_cbranch_execnz .LBB4_1684
; %bb.1328:                             ;   in Loop: Header=BB4_1323 Depth=3
	v_or_b32_e32 v30, 64, v30
	s_xor_b32 s41, exec_lo, -1
	s_branch .LBB4_1320
.LBB4_1329:                             ;   in Loop: Header=BB4_1317 Depth=2
	s_or_b32 exec_lo, exec_lo, s37
	v_and_b32_e32 v2, 4, v30
.LBB4_1330:                             ;   in Loop: Header=BB4_1317 Depth=2
	s_or_b32 exec_lo, exec_lo, s17
	s_delay_alu instid0(VALU_DEP_1)
	v_cmp_eq_u32_e32 vcc_lo, 0, v2
	;;#ASMSTART
	s_wakeup
	;;#ASMEND
	s_or_not1_b32 s17, vcc_lo, exec_lo
.LBB4_1331:                             ;   in Loop: Header=BB4_1317 Depth=2
	s_or_b32 exec_lo, exec_lo, s16
	s_xor_b32 s13, s13, -1
	s_delay_alu instid0(SALU_CYCLE_1) | instskip(NEXT) | instid1(SALU_CYCLE_1)
	s_and_b32 s13, exec_lo, s13
	s_or_b32 s15, s13, s15
	s_xor_b32 s13, s17, -1
	s_delay_alu instid0(SALU_CYCLE_1)
	s_and_saveexec_b32 s16, s13
	s_cbranch_execz .LBB4_1341
; %bb.1332:                             ;   in Loop: Header=BB4_1317 Depth=2
	v_and_b32_e32 v2, 0x100, v30
	s_mov_b32 s13, -1
                                        ; implicit-def: $vgpr8_vgpr9
	s_delay_alu instid0(VALU_DEP_1)
	v_cmp_ne_u32_e32 vcc_lo, 0, v2
	v_and_b32_e32 v2, 7, v34
	s_and_saveexec_b32 s17, vcc_lo
	s_cbranch_execz .LBB4_1336
; %bb.1333:                             ;   in Loop: Header=BB4_1317 Depth=2
	s_delay_alu instid0(VALU_DEP_1) | instskip(SKIP_4) | instid1(VALU_DEP_1)
	v_mad_u64_u32 v[10:11], null, v2, 24, v[6:7]
	flat_load_b32 v8, v[10:11]
	s_waitcnt vmcnt(0) lgkmcnt(0)
	v_cmp_ne_u32_e32 vcc_lo, 1, v8
	v_cmp_eq_u32_e64 s13, 1, v8
                                        ; implicit-def: $vgpr8_vgpr9
	s_and_saveexec_b32 s37, s13
	s_cbranch_execz .LBB4_1335
; %bb.1334:                             ;   in Loop: Header=BB4_1317 Depth=2
	flat_load_b32 v8, v[10:11] offset:4 glc
	s_waitcnt vmcnt(0) lgkmcnt(0)
	v_ashrrev_i32_e32 v9, 31, v8
.LBB4_1335:                             ;   in Loop: Header=BB4_1317 Depth=2
	s_or_b32 exec_lo, exec_lo, s37
	s_delay_alu instid0(SALU_CYCLE_1)
	s_or_not1_b32 s13, vcc_lo, exec_lo
.LBB4_1336:                             ;   in Loop: Header=BB4_1317 Depth=2
	s_or_b32 exec_lo, exec_lo, s17
	s_and_saveexec_b32 s17, s13
; %bb.1337:                             ;   in Loop: Header=BB4_1317 Depth=2
	v_mad_i64_i32 v[8:9], null, v2, v86, 0
; %bb.1338:                             ;   in Loop: Header=BB4_1317 Depth=2
	s_or_b32 exec_lo, exec_lo, s17
	s_delay_alu instid0(VALU_DEP_1) | instskip(SKIP_1) | instid1(VALU_DEP_3)
	v_add_co_u32 v8, vcc_lo, v36, v8
	v_and_b32_e32 v2, 0x2000, v30
	v_add_co_ci_u32_e32 v9, vcc_lo, v37, v9, vcc_lo
	s_mov_b32 s13, exec_lo
	ds_store_b64 v0, v[8:9] offset:720
	v_cmpx_ne_u32_e32 0, v2
	s_cbranch_execz .LBB4_1340
; %bb.1339:                             ;   in Loop: Header=BB4_1317 Depth=2
	ds_load_b64 v[8:9], v0 offset:584
	s_waitcnt lgkmcnt(0)
	v_add_co_u32 v8, vcc_lo, v8, 1
	v_add_co_ci_u32_e32 v9, vcc_lo, 0, v9, vcc_lo
	ds_store_b64 v0, v[8:9] offset:584
.LBB4_1340:                             ;   in Loop: Header=BB4_1317 Depth=2
	s_or_b32 exec_lo, exec_lo, s13
	v_add_co_u32 v34, vcc_lo, v34, 2
	v_add_co_ci_u32_e32 v35, vcc_lo, 0, v35, vcc_lo
.LBB4_1341:                             ;   in Loop: Header=BB4_1317 Depth=2
	s_or_b32 exec_lo, exec_lo, s16
	s_and_saveexec_b32 s13, s3
	s_cbranch_execz .LBB4_1363
; %bb.1342:                             ;   in Loop: Header=BB4_1317 Depth=2
	s_and_saveexec_b32 s16, s4
	s_delay_alu instid0(SALU_CYCLE_1)
	s_xor_b32 s16, exec_lo, s16
	s_cbranch_execz .LBB4_1360
; %bb.1343:                             ;   in Loop: Header=BB4_1317 Depth=2
	s_and_saveexec_b32 s17, s1
	s_cbranch_execz .LBB4_1359
; %bb.1344:                             ;   in Loop: Header=BB4_1317 Depth=2
	s_mov_b32 s38, exec_lo
	s_mov_b32 s37, exec_lo
	v_mbcnt_lo_u32_b32 v2, s38, 0
	s_waitcnt lgkmcnt(0)
	s_waitcnt_vscnt null, 0x0
	buffer_gl1_inv
	buffer_gl0_inv
	v_cmpx_eq_u32_e32 0, v2
	s_cbranch_execz .LBB4_1346
; %bb.1345:                             ;   in Loop: Header=BB4_1317 Depth=2
	s_bcnt1_i32_b32 vcc_lo, s38
	s_delay_alu instid0(SALU_CYCLE_1)
	v_mov_b32_e32 v2, vcc_lo
	ds_add_u64 v0, v[2:3]
	s_cbranch_execnz .LBB4_1718
.LBB4_1346:                             ;   in Loop: Header=BB4_1317 Depth=2
	s_or_b32 exec_lo, exec_lo, s37
	s_cbranch_execnz .LBB4_1696
; %bb.1347:                             ;   in Loop: Header=BB4_1317 Depth=2
	ds_load_b64 v[8:9], v0
	v_add_co_u32 v48, vcc_lo, v48, v97
	v_add_co_ci_u32_e32 v49, vcc_lo, 0, v49, vcc_lo
	s_mov_b32 s37, exec_lo
	s_waitcnt lgkmcnt(0)
	s_delay_alu instid0(VALU_DEP_1)
	v_cmpx_lt_u64_e64 v[8:9], v[48:49]
	s_cbranch_execz .LBB4_1358
; %bb.1348:                             ;   in Loop: Header=BB4_1317 Depth=2
	s_mov_b32 s38, 0
	s_mov_b32 s41, 0
                                        ; implicit-def: $sgpr39
                                        ; implicit-def: $sgpr40
	s_branch .LBB4_1350
.LBB4_1349:                             ;   in Loop: Header=BB4_1350 Depth=3
	s_or_b32 exec_lo, exec_lo, s43
	s_delay_alu instid0(SALU_CYCLE_1) | instskip(NEXT) | instid1(SALU_CYCLE_1)
	s_and_b32 vcc_lo, exec_lo, vcc_lo
	s_or_b32 s38, vcc_lo, s38
	s_and_not1_b32 vcc_lo, s39, exec_lo
	s_and_b32 s39, s40, exec_lo
	s_delay_alu instid0(SALU_CYCLE_1)
	s_or_b32 s39, vcc_lo, s39
	s_and_not1_b32 exec_lo, exec_lo, s38
	s_cbranch_execz .LBB4_1356
.LBB4_1350:                             ;   Parent Loop BB4_51 Depth=1
                                        ;     Parent Loop BB4_1317 Depth=2
                                        ; =>    This Inner Loop Header: Depth=3
	s_add_i32 s41, s41, 1
                                        ; implicit-def: $sgpr43
	s_delay_alu instid0(SALU_CYCLE_1) | instskip(SKIP_1) | instid1(SALU_CYCLE_1)
	s_cmpk_lg_i32 s41, 0x2710
	s_cselect_b32 s42, -1, 0
	s_and_b32 vcc_lo, exec_lo, s42
	s_cbranch_vccz .LBB4_1354
.LBB4_1351:                             ;   in Loop: Header=BB4_1350 Depth=3
	s_and_not1_b32 s40, s40, exec_lo
	s_and_b32 s43, s43, exec_lo
	s_mov_b32 vcc_lo, -1
	s_or_b32 s40, s40, s43
	s_and_saveexec_b32 s43, s42
	s_cbranch_execz .LBB4_1349
; %bb.1352:                             ;   in Loop: Header=BB4_1350 Depth=3
	s_sleep 1
	s_cbranch_execnz .LBB4_1770
; %bb.1353:                             ;   in Loop: Header=BB4_1350 Depth=3
	ds_load_b64 v[8:9], v0
	s_and_not1_b32 s40, s40, exec_lo
	s_waitcnt lgkmcnt(0)
	v_cmp_ge_u64_e32 vcc_lo, v[8:9], v[48:49]
	s_or_not1_b32 vcc_lo, vcc_lo, exec_lo
	s_branch .LBB4_1349
.LBB4_1354:                             ;   in Loop: Header=BB4_1350 Depth=3
	s_cbranch_execnz .LBB4_1790
; %bb.1355:                             ;   in Loop: Header=BB4_1350 Depth=3
	ds_load_b64 v[8:9], v0
	s_and_not1_b32 s42, s42, exec_lo
	s_mov_b32 s41, 0
	s_mov_b32 s43, -1
	s_waitcnt lgkmcnt(0)
	flat_load_b32 v2, v[8:9] glc
	s_waitcnt vmcnt(0) lgkmcnt(0)
	buffer_gl1_inv
	buffer_gl0_inv
	v_cmp_eq_u32_e32 vcc_lo, 0, v2
	s_and_b32 vcc_lo, vcc_lo, exec_lo
	s_delay_alu instid0(SALU_CYCLE_1)
	s_or_b32 s42, s42, vcc_lo
	s_branch .LBB4_1351
.LBB4_1356:                             ;   in Loop: Header=BB4_1317 Depth=2
	s_or_b32 exec_lo, exec_lo, s38
	s_and_saveexec_b32 vcc_lo, s39
	s_delay_alu instid0(SALU_CYCLE_1)
	s_xor_b32 vcc_lo, exec_lo, vcc_lo
	s_cbranch_execz .LBB4_1358
; %bb.1357:                             ;   in Loop: Header=BB4_1317 Depth=2
	ds_store_b32 v0, v134
	s_cbranch_execnz .LBB4_1912
.LBB4_1358:                             ;   in Loop: Header=BB4_1317 Depth=2
	s_or_b32 exec_lo, exec_lo, s37
	;;#ASMSTART
	s_wakeup
	;;#ASMEND
.LBB4_1359:                             ;   in Loop: Header=BB4_1317 Depth=2
	s_or_b32 exec_lo, exec_lo, s17
.LBB4_1360:                             ;   in Loop: Header=BB4_1317 Depth=2
	s_and_not1_saveexec_b32 s16, s16
	s_cbranch_execz .LBB4_1362
; %bb.1361:                             ;   in Loop: Header=BB4_1317 Depth=2
	s_waitcnt lgkmcnt(0)
	s_waitcnt_vscnt null, 0x0
	buffer_gl1_inv
	buffer_gl0_inv
	s_barrier
.LBB4_1362:                             ;   in Loop: Header=BB4_1317 Depth=2
	s_or_b32 exec_lo, exec_lo, s16
.LBB4_1363:                             ;   in Loop: Header=BB4_1317 Depth=2
	s_delay_alu instid0(SALU_CYCLE_1) | instskip(SKIP_1) | instid1(VALU_DEP_1)
	s_or_b32 exec_lo, exec_lo, s13
	v_sub_nc_u32_e32 v2, v12, v14
	v_min_i32_e32 v13, v13, v2
	s_and_saveexec_b32 s13, s7
	s_delay_alu instid0(SALU_CYCLE_1)
	s_xor_b32 s16, exec_lo, s13
	s_cbranch_execz .LBB4_1368
; %bb.1364:                             ;   in Loop: Header=BB4_1317 Depth=2
	s_cbranch_execnz .LBB4_1602
; %bb.1365:                             ;   in Loop: Header=BB4_1317 Depth=2
	ds_load_b32 v2, v0
	v_cmp_lt_i32_e32 vcc_lo, 0, v13
	s_waitcnt lgkmcnt(0)
	v_readfirstlane_b32 s13, v2
	v_and_b32_e32 v2, 16, v30
	s_delay_alu instid0(VALU_DEP_2) | instskip(NEXT) | instid1(VALU_DEP_1)
	s_cmp_eq_u32 s13, 0
	v_cmp_ne_u32_e64 s13, 0, v2
	s_cselect_b32 s17, -1, 0
	s_delay_alu instid0(SALU_CYCLE_1)
	s_and_b32 s17, vcc_lo, s17
	s_delay_alu instid0(VALU_DEP_1) | instid1(SALU_CYCLE_1)
	s_and_b32 s17, s13, s17
	s_delay_alu instid0(SALU_CYCLE_1)
	s_and_saveexec_b32 s13, s17
	s_cbranch_execz .LBB4_1367
; %bb.1366:                             ;   in Loop: Header=BB4_1317 Depth=2
	s_waitcnt_vscnt null, 0x0
	buffer_gl1_inv
	buffer_gl0_inv
.LBB4_1367:                             ;   in Loop: Header=BB4_1317 Depth=2
	s_or_b32 exec_lo, exec_lo, s13
.LBB4_1368:                             ;   in Loop: Header=BB4_1317 Depth=2
	s_and_not1_saveexec_b32 s13, s16
	s_cbranch_execz .LBB4_1390
; %bb.1369:                             ;   in Loop: Header=BB4_1317 Depth=2
	s_and_saveexec_b32 s16, s4
	s_delay_alu instid0(SALU_CYCLE_1)
	s_xor_b32 s16, exec_lo, s16
	s_cbranch_execz .LBB4_1387
; %bb.1370:                             ;   in Loop: Header=BB4_1317 Depth=2
	s_and_saveexec_b32 s17, s1
	s_cbranch_execz .LBB4_1386
; %bb.1371:                             ;   in Loop: Header=BB4_1317 Depth=2
	s_mov_b32 s38, exec_lo
	s_mov_b32 s37, exec_lo
	v_mbcnt_lo_u32_b32 v2, s38, 0
	;;#ASMSTART
	s_waitcnt lgkmcnt(0) vmcnt(0)
	;;#ASMEND
	s_delay_alu instid0(VALU_DEP_1)
	v_cmpx_eq_u32_e32 0, v2
	s_cbranch_execz .LBB4_1373
; %bb.1372:                             ;   in Loop: Header=BB4_1317 Depth=2
	s_bcnt1_i32_b32 vcc_lo, s38
	s_delay_alu instid0(SALU_CYCLE_1)
	v_mov_b32_e32 v2, vcc_lo
	ds_add_u64 v0, v[2:3]
	s_cbranch_execnz .LBB4_1744
.LBB4_1373:                             ;   in Loop: Header=BB4_1317 Depth=2
	s_or_b32 exec_lo, exec_lo, s37
	s_cbranch_execnz .LBB4_1716
; %bb.1374:                             ;   in Loop: Header=BB4_1317 Depth=2
	ds_load_b64 v[8:9], v0
	v_add_co_u32 v48, vcc_lo, v48, v97
	v_add_co_ci_u32_e32 v49, vcc_lo, 0, v49, vcc_lo
	s_mov_b32 s37, exec_lo
	s_waitcnt lgkmcnt(0)
	s_delay_alu instid0(VALU_DEP_1)
	v_cmpx_lt_u64_e64 v[8:9], v[48:49]
	s_cbranch_execz .LBB4_1385
; %bb.1375:                             ;   in Loop: Header=BB4_1317 Depth=2
	s_mov_b32 s38, 0
	s_mov_b32 s41, 0
                                        ; implicit-def: $sgpr39
                                        ; implicit-def: $sgpr40
	s_branch .LBB4_1377
.LBB4_1376:                             ;   in Loop: Header=BB4_1377 Depth=3
	s_or_b32 exec_lo, exec_lo, s43
	s_delay_alu instid0(SALU_CYCLE_1) | instskip(NEXT) | instid1(SALU_CYCLE_1)
	s_and_b32 vcc_lo, exec_lo, vcc_lo
	s_or_b32 s38, vcc_lo, s38
	s_and_not1_b32 vcc_lo, s39, exec_lo
	s_and_b32 s39, s40, exec_lo
	s_delay_alu instid0(SALU_CYCLE_1)
	s_or_b32 s39, vcc_lo, s39
	s_and_not1_b32 exec_lo, exec_lo, s38
	s_cbranch_execz .LBB4_1383
.LBB4_1377:                             ;   Parent Loop BB4_51 Depth=1
                                        ;     Parent Loop BB4_1317 Depth=2
                                        ; =>    This Inner Loop Header: Depth=3
	s_add_i32 s41, s41, 1
                                        ; implicit-def: $sgpr43
	s_delay_alu instid0(SALU_CYCLE_1) | instskip(SKIP_1) | instid1(SALU_CYCLE_1)
	s_cmpk_lg_i32 s41, 0x2710
	s_cselect_b32 s42, -1, 0
	s_and_b32 vcc_lo, exec_lo, s42
	s_cbranch_vccz .LBB4_1381
.LBB4_1378:                             ;   in Loop: Header=BB4_1377 Depth=3
	s_and_not1_b32 s40, s40, exec_lo
	s_and_b32 s43, s43, exec_lo
	s_mov_b32 vcc_lo, -1
	s_or_b32 s40, s40, s43
	s_and_saveexec_b32 s43, s42
	s_cbranch_execz .LBB4_1376
; %bb.1379:                             ;   in Loop: Header=BB4_1377 Depth=3
	s_sleep 1
	s_cbranch_execnz .LBB4_1796
; %bb.1380:                             ;   in Loop: Header=BB4_1377 Depth=3
	ds_load_b64 v[8:9], v0
	s_and_not1_b32 s40, s40, exec_lo
	s_waitcnt lgkmcnt(0)
	v_cmp_ge_u64_e32 vcc_lo, v[8:9], v[48:49]
	s_or_not1_b32 vcc_lo, vcc_lo, exec_lo
	s_branch .LBB4_1376
.LBB4_1381:                             ;   in Loop: Header=BB4_1377 Depth=3
	s_cbranch_execnz .LBB4_1816
; %bb.1382:                             ;   in Loop: Header=BB4_1377 Depth=3
	ds_load_b64 v[8:9], v0
	s_and_not1_b32 s42, s42, exec_lo
	s_mov_b32 s41, 0
	s_mov_b32 s43, -1
	s_waitcnt lgkmcnt(0)
	s_waitcnt_vscnt null, 0x0
	flat_load_b32 v2, v[8:9] glc
	s_waitcnt vmcnt(0) lgkmcnt(0)
	buffer_gl1_inv
	buffer_gl0_inv
	v_cmp_eq_u32_e32 vcc_lo, 0, v2
	s_and_b32 vcc_lo, vcc_lo, exec_lo
	s_delay_alu instid0(SALU_CYCLE_1)
	s_or_b32 s42, s42, vcc_lo
	s_branch .LBB4_1378
.LBB4_1383:                             ;   in Loop: Header=BB4_1317 Depth=2
	s_or_b32 exec_lo, exec_lo, s38
	s_and_saveexec_b32 vcc_lo, s39
	s_delay_alu instid0(SALU_CYCLE_1)
	s_xor_b32 vcc_lo, exec_lo, vcc_lo
	s_cbranch_execz .LBB4_1385
; %bb.1384:                             ;   in Loop: Header=BB4_1317 Depth=2
	ds_store_b32 v0, v134
	s_cbranch_execnz .LBB4_1920
.LBB4_1385:                             ;   in Loop: Header=BB4_1317 Depth=2
	s_or_b32 exec_lo, exec_lo, s37
	;;#ASMSTART
	s_wakeup
	;;#ASMEND
.LBB4_1386:                             ;   in Loop: Header=BB4_1317 Depth=2
	s_or_b32 exec_lo, exec_lo, s17
.LBB4_1387:                             ;   in Loop: Header=BB4_1317 Depth=2
	s_and_not1_saveexec_b32 s16, s16
	s_cbranch_execz .LBB4_1389
; %bb.1388:                             ;   in Loop: Header=BB4_1317 Depth=2
	;;#ASMSTART
	s_waitcnt lgkmcnt(0) vmcnt(0)
	;;#ASMEND
	s_waitcnt lgkmcnt(0)
	s_waitcnt_vscnt null, 0x0
	s_barrier
.LBB4_1389:                             ;   in Loop: Header=BB4_1317 Depth=2
	s_or_b32 exec_lo, exec_lo, s16
.LBB4_1390:                             ;   in Loop: Header=BB4_1317 Depth=2
	s_delay_alu instid0(SALU_CYCLE_1) | instskip(SKIP_2) | instid1(VALU_DEP_1)
	s_or_b32 exec_lo, exec_lo, s13
	v_and_b32_e32 v2, 32, v30
	s_mov_b32 s13, exec_lo
	v_cmpx_ne_u32_e32 0, v2
	s_cbranch_execz .LBB4_1392
; %bb.1391:                             ;   in Loop: Header=BB4_1317 Depth=2
	v_add_co_u32 v34, vcc_lo, v34, 2
	v_add_co_ci_u32_e32 v35, vcc_lo, 0, v35, vcc_lo
	s_waitcnt lgkmcnt(0)
	s_waitcnt_vscnt null, 0x0
	flat_store_b64 v[32:33], v[34:35]
.LBB4_1392:                             ;   in Loop: Header=BB4_1317 Depth=2
	s_or_b32 exec_lo, exec_lo, s13
	v_add_nc_u32_e32 v14, v13, v14
	s_mov_b32 s13, 0
	s_and_not1_b32 exec_lo, exec_lo, s15
	s_cbranch_execnz .LBB4_1317
; %bb.1393:                             ;   in Loop: Header=BB4_51 Depth=1
	s_or_b32 exec_lo, exec_lo, s15
.LBB4_1394:                             ;   in Loop: Header=BB4_51 Depth=1
	s_delay_alu instid0(SALU_CYCLE_1)
	s_or_b32 exec_lo, exec_lo, s14
	v_add_co_u32 v54, vcc_lo, v54, v52
	v_add_co_ci_u32_e32 v55, vcc_lo, v55, v53, vcc_lo
	s_mov_b32 s37, s18
	s_mov_b32 s38, s19
	;; [unrolled: 1-line block ×3, first 2 shown]
	s_delay_alu instid0(VALU_DEP_1) | instskip(SKIP_1) | instid1(SALU_CYCLE_1)
	v_cmp_ge_i64_e32 vcc_lo, v[54:55], v[4:5]
	s_or_b32 s36, vcc_lo, s36
	s_and_not1_b32 exec_lo, exec_lo, s36
	s_cbranch_execnz .LBB4_51
; %bb.1395:
	s_or_b32 exec_lo, exec_lo, s36
.LBB4_1396:
	s_delay_alu instid0(SALU_CYCLE_1)
	s_or_b32 exec_lo, exec_lo, s21
; %bb.1397:
	v_and_b32_e32 v0, 0x800, v30
	s_mov_b32 s0, exec_lo
	s_delay_alu instid0(VALU_DEP_1)
	v_cmpx_eq_u32_e32 0, v0
	s_cbranch_execz .LBB4_1652
; %bb.1398:
	v_and_b32_e32 v0, 48, v30
	s_mov_b32 s1, exec_lo
	s_delay_alu instid0(VALU_DEP_1)
	v_cmpx_ne_u32_e32 0, v0
	s_cbranch_execz .LBB4_1400
; %bb.1399:
	flat_store_b64 v[28:29], v[34:35] offset:104
.LBB4_1400:
	s_or_b32 exec_lo, exec_lo, s1
	v_and_b32_e32 v0, 0x88, v30
	s_mov_b32 s1, exec_lo
	s_delay_alu instid0(VALU_DEP_1)
	v_cmpx_eq_u32_e32 0x88, v0
	s_cbranch_execz .LBB4_1450
; %bb.1401:
	v_add_nc_u32_e32 v0, 6, v34
	s_mov_b32 s2, 0
                                        ; implicit-def: $sgpr3
	s_delay_alu instid0(VALU_DEP_1) | instskip(NEXT) | instid1(VALU_DEP_1)
	v_and_b32_e32 v0, 7, v0
	v_mad_u64_u32 v[2:3], null, v0, 24, v[6:7]
	v_mov_b32_e32 v0, 0
	s_delay_alu instid0(VALU_DEP_2) | instskip(NEXT) | instid1(VALU_DEP_3)
	v_add_co_u32 v2, vcc_lo, v2, 8
	v_add_co_ci_u32_e32 v3, vcc_lo, 0, v3, vcc_lo
	s_branch .LBB4_1436
.LBB4_1402:
	s_trap 2
	s_sendmsg_rtn_b32 s0, sendmsg(MSG_RTN_GET_DOORBELL)
	s_mov_b32 ttmp2, m0
	s_waitcnt lgkmcnt(0)
	s_and_b32 s0, s0, 0x3ff
	s_delay_alu instid0(SALU_CYCLE_1) | instskip(NEXT) | instid1(SALU_CYCLE_1)
	s_bitset1_b32 s0, 10
	s_mov_b32 m0, s0
	s_sendmsg sendmsg(MSG_INTERRUPT)
	s_mov_b32 m0, ttmp2
.LBB4_1403:                             ; =>This Inner Loop Header: Depth=1
	s_sethalt 5
	s_branch .LBB4_1403
.LBB4_1404:
	v_bfe_u32 v9, v7, 8, 8
	v_not_b32_e32 v8, v8
	s_mov_b32 s1, exec_lo
                                        ; implicit-def: $vgpr14_vgpr15
                                        ; implicit-def: $vgpr24_vgpr25
                                        ; implicit-def: $vgpr4_vgpr5
	s_delay_alu instid0(VALU_DEP_2)
	v_cmpx_ne_u32_e64 v9, v6
	s_xor_b32 s1, exec_lo, s1
	s_cbranch_execz .LBB4_1406
; %bb.1405:
	s_clause 0x1
	flat_load_b128 v[9:12], v[2:3] offset:72
	flat_load_b64 v[4:5], v[2:3] offset:96
	v_add_nc_u32_e32 v6, v6, v8
                                        ; implicit-def: $vgpr8
	s_waitcnt vmcnt(0) lgkmcnt(0)
	v_lshrrev_b64 v[14:15], 12, v[4:5]
	v_dual_mov_b32 v4, v11 :: v_dual_mov_b32 v5, v12
	s_delay_alu instid0(VALU_DEP_3) | instskip(SKIP_2) | instid1(VALU_DEP_3)
	v_ashrrev_i32_e32 v7, 31, v6
	v_mad_u64_u32 v[24:25], null, v11, v6, v[9:10]
	v_mul_lo_u32 v6, v12, v6
                                        ; implicit-def: $vgpr9
	v_mul_lo_u32 v7, v11, v7
	s_delay_alu instid0(VALU_DEP_1)
	v_add3_u32 v25, v6, v25, v7
.LBB4_1406:
	s_and_not1_saveexec_b32 s1, s1
	s_cbranch_execz .LBB4_1408
; %bb.1407:
	s_clause 0x1
	flat_load_b128 v[10:13], v[2:3] offset:72
	flat_load_b128 v[4:7], v[2:3] offset:88
	s_waitcnt vmcnt(0) lgkmcnt(0)
	v_add_nc_u32_e32 v6, v9, v8
	s_delay_alu instid0(VALU_DEP_1) | instskip(NEXT) | instid1(VALU_DEP_1)
	v_ashrrev_i32_e32 v8, 31, v6
	v_mul_lo_u32 v8, v12, v8
	v_mad_u64_u32 v[24:25], null, v12, v6, v[10:11]
	v_mul_lo_u32 v6, v13, v6
	v_lshrrev_b32_e32 v14, 1, v7
	s_delay_alu instid0(VALU_DEP_2)
	v_add3_u32 v25, v6, v25, v8
.LBB4_1408:
	s_or_b32 exec_lo, exec_lo, s1
	s_and_not1_saveexec_b32 s0, s0
	s_cbranch_execz .LBB4_3
.LBB4_1409:
	s_clause 0x1
	flat_load_b64 v[6:7], v[2:3] offset:96
	flat_load_b64 v[4:5], v[2:3] offset:72
	v_mov_b32_e32 v24, 0
	v_mov_b32_e32 v25, 0
	s_waitcnt vmcnt(1) lgkmcnt(1)
	v_lshlrev_b64 v[14:15], 9, v[6:7]
	s_or_b32 exec_lo, exec_lo, s0
	s_cbranch_execz .LBB4_4
.LBB4_1410:
	s_trap 2
	s_sendmsg_rtn_b32 s0, sendmsg(MSG_RTN_GET_DOORBELL)
	s_mov_b32 ttmp2, m0
	s_waitcnt lgkmcnt(0)
	s_and_b32 s0, s0, 0x3ff
	s_delay_alu instid0(SALU_CYCLE_1) | instskip(NEXT) | instid1(SALU_CYCLE_1)
	s_bitset1_b32 s0, 10
	s_mov_b32 m0, s0
	s_sendmsg sendmsg(MSG_INTERRUPT)
	s_mov_b32 m0, ttmp2
.LBB4_1411:                             ; =>This Inner Loop Header: Depth=1
	s_sethalt 5
	s_branch .LBB4_1411
.LBB4_1412:
	s_trap 2
	s_sendmsg_rtn_b32 s0, sendmsg(MSG_RTN_GET_DOORBELL)
	s_mov_b32 ttmp2, m0
	s_waitcnt lgkmcnt(0)
	s_and_b32 s0, s0, 0x3ff
	s_delay_alu instid0(SALU_CYCLE_1) | instskip(NEXT) | instid1(SALU_CYCLE_1)
	s_bitset1_b32 s0, 10
	s_mov_b32 m0, s0
	s_sendmsg sendmsg(MSG_INTERRUPT)
	s_mov_b32 m0, ttmp2
.LBB4_1413:                             ; =>This Inner Loop Header: Depth=1
	s_sethalt 5
	s_branch .LBB4_1413
.LBB4_1414:
	s_trap 2
	s_sendmsg_rtn_b32 s0, sendmsg(MSG_RTN_GET_DOORBELL)
	s_mov_b32 ttmp2, m0
	s_waitcnt lgkmcnt(0)
	s_and_b32 s0, s0, 0x3ff
	s_delay_alu instid0(SALU_CYCLE_1) | instskip(NEXT) | instid1(SALU_CYCLE_1)
	s_bitset1_b32 s0, 10
	s_mov_b32 m0, s0
	s_sendmsg sendmsg(MSG_INTERRUPT)
	s_mov_b32 m0, ttmp2
.LBB4_1415:                             ; =>This Inner Loop Header: Depth=1
	s_sethalt 5
	s_branch .LBB4_1415
.LBB4_1416:
	s_trap 2
	s_sendmsg_rtn_b32 s0, sendmsg(MSG_RTN_GET_DOORBELL)
	s_mov_b32 ttmp2, m0
	s_waitcnt lgkmcnt(0)
	s_and_b32 s0, s0, 0x3ff
	s_delay_alu instid0(SALU_CYCLE_1) | instskip(NEXT) | instid1(SALU_CYCLE_1)
	s_bitset1_b32 s0, 10
	s_mov_b32 m0, s0
	s_sendmsg sendmsg(MSG_INTERRUPT)
	s_mov_b32 m0, ttmp2
.LBB4_1417:                             ; =>This Inner Loop Header: Depth=1
	s_sethalt 5
	s_branch .LBB4_1417
.LBB4_1418:
	s_trap 2
	s_sendmsg_rtn_b32 s0, sendmsg(MSG_RTN_GET_DOORBELL)
	s_mov_b32 ttmp2, m0
	s_waitcnt lgkmcnt(0)
	s_and_b32 s0, s0, 0x3ff
	s_delay_alu instid0(SALU_CYCLE_1) | instskip(NEXT) | instid1(SALU_CYCLE_1)
	s_bitset1_b32 s0, 10
	s_mov_b32 m0, s0
	s_sendmsg sendmsg(MSG_INTERRUPT)
	s_mov_b32 m0, ttmp2
.LBB4_1419:                             ; =>This Inner Loop Header: Depth=1
	s_sethalt 5
	s_branch .LBB4_1419
.LBB4_1420:
	s_trap 2
	s_sendmsg_rtn_b32 s0, sendmsg(MSG_RTN_GET_DOORBELL)
	s_mov_b32 ttmp2, m0
	s_waitcnt lgkmcnt(0)
	s_and_b32 s0, s0, 0x3ff
	s_delay_alu instid0(SALU_CYCLE_1) | instskip(NEXT) | instid1(SALU_CYCLE_1)
	s_bitset1_b32 s0, 10
	s_mov_b32 m0, s0
	s_sendmsg sendmsg(MSG_INTERRUPT)
	s_mov_b32 m0, ttmp2
.LBB4_1421:                             ; =>This Inner Loop Header: Depth=1
	s_sethalt 5
	s_branch .LBB4_1421
.LBB4_1422:
	s_trap 2
	s_sendmsg_rtn_b32 s0, sendmsg(MSG_RTN_GET_DOORBELL)
	s_mov_b32 ttmp2, m0
	s_waitcnt lgkmcnt(0)
	s_and_b32 s0, s0, 0x3ff
	s_delay_alu instid0(SALU_CYCLE_1) | instskip(NEXT) | instid1(SALU_CYCLE_1)
	s_bitset1_b32 s0, 10
	s_mov_b32 m0, s0
	s_sendmsg sendmsg(MSG_INTERRUPT)
	s_mov_b32 m0, ttmp2
.LBB4_1423:                             ; =>This Inner Loop Header: Depth=1
	s_sethalt 5
	s_branch .LBB4_1423
.LBB4_1424:
	s_trap 2
	s_sendmsg_rtn_b32 s0, sendmsg(MSG_RTN_GET_DOORBELL)
	s_mov_b32 ttmp2, m0
	s_waitcnt lgkmcnt(0)
	s_and_b32 s0, s0, 0x3ff
	s_delay_alu instid0(SALU_CYCLE_1) | instskip(NEXT) | instid1(SALU_CYCLE_1)
	s_bitset1_b32 s0, 10
	s_mov_b32 m0, s0
	s_sendmsg sendmsg(MSG_INTERRUPT)
	s_mov_b32 m0, ttmp2
.LBB4_1425:                             ; =>This Inner Loop Header: Depth=1
	s_sethalt 5
	s_branch .LBB4_1425
.LBB4_1426:
	s_trap 2
	s_sendmsg_rtn_b32 s0, sendmsg(MSG_RTN_GET_DOORBELL)
	s_mov_b32 ttmp2, m0
	s_waitcnt lgkmcnt(0)
	s_and_b32 s0, s0, 0x3ff
	s_delay_alu instid0(SALU_CYCLE_1) | instskip(NEXT) | instid1(SALU_CYCLE_1)
	s_bitset1_b32 s0, 10
	s_mov_b32 m0, s0
	s_sendmsg sendmsg(MSG_INTERRUPT)
	s_mov_b32 m0, ttmp2
.LBB4_1427:                             ; =>This Inner Loop Header: Depth=1
	s_sethalt 5
	s_branch .LBB4_1427
.LBB4_1428:
	s_trap 2
	s_sendmsg_rtn_b32 s0, sendmsg(MSG_RTN_GET_DOORBELL)
	s_mov_b32 ttmp2, m0
	s_waitcnt lgkmcnt(0)
	s_and_b32 s0, s0, 0x3ff
	s_delay_alu instid0(SALU_CYCLE_1) | instskip(NEXT) | instid1(SALU_CYCLE_1)
	s_bitset1_b32 s0, 10
	s_mov_b32 m0, s0
	s_sendmsg sendmsg(MSG_INTERRUPT)
	s_mov_b32 m0, ttmp2
.LBB4_1429:                             ; =>This Inner Loop Header: Depth=1
	s_sethalt 5
	s_branch .LBB4_1429
.LBB4_1430:
	s_trap 2
	s_sendmsg_rtn_b32 s0, sendmsg(MSG_RTN_GET_DOORBELL)
	s_mov_b32 ttmp2, m0
	s_waitcnt lgkmcnt(0)
	s_and_b32 s0, s0, 0x3ff
	s_delay_alu instid0(SALU_CYCLE_1) | instskip(NEXT) | instid1(SALU_CYCLE_1)
	s_bitset1_b32 s0, 10
	s_mov_b32 m0, s0
	s_sendmsg sendmsg(MSG_INTERRUPT)
	s_mov_b32 m0, ttmp2
.LBB4_1431:                             ; =>This Inner Loop Header: Depth=1
	s_sethalt 5
	s_branch .LBB4_1431
.LBB4_1432:                             ;   in Loop: Header=BB4_1436 Depth=1
	s_or_b32 exec_lo, exec_lo, s10
	v_mov_b32_e32 v4, 0
	s_or_not1_b32 s7, s7, exec_lo
.LBB4_1433:                             ;   in Loop: Header=BB4_1436 Depth=1
	s_or_b32 exec_lo, exec_lo, s6
	s_delay_alu instid0(VALU_DEP_1)
	v_mov_b32_e32 v0, v4
	s_and_b32 s6, s7, exec_lo
.LBB4_1434:                             ;   in Loop: Header=BB4_1436 Depth=1
	s_or_b32 exec_lo, exec_lo, s5
	s_xor_b32 s5, s6, -1
	s_and_not1_b32 s3, s3, exec_lo
	s_and_b32 s5, s5, exec_lo
	s_delay_alu instid0(SALU_CYCLE_1)
	s_or_b32 s3, s3, s5
.LBB4_1435:                             ;   in Loop: Header=BB4_1436 Depth=1
	s_or_b32 exec_lo, exec_lo, s4
	s_delay_alu instid0(SALU_CYCLE_1) | instskip(NEXT) | instid1(SALU_CYCLE_1)
	s_and_b32 s4, exec_lo, s3
	s_or_b32 s2, s4, s2
	s_delay_alu instid0(SALU_CYCLE_1)
	s_and_not1_b32 exec_lo, exec_lo, s2
	s_cbranch_execz .LBB4_1449
.LBB4_1436:                             ; =>This Inner Loop Header: Depth=1
	flat_load_b64 v[4:5], v[2:3] glc dlc
	s_waitcnt vmcnt(0)
	s_or_b32 s3, s3, exec_lo
	s_mov_b32 s4, exec_lo
	s_waitcnt lgkmcnt(0)
	v_cmpx_ne_u64_e32 -1, v[4:5]
	s_cbranch_execz .LBB4_1435
; %bb.1437:                             ;   in Loop: Header=BB4_1436 Depth=1
	v_and_b32_e32 v4, 64, v30
	s_mov_b32 s6, 0
	s_mov_b32 s5, exec_lo
	s_delay_alu instid0(VALU_DEP_1)
	v_cmpx_eq_u32_e32 0, v4
	s_cbranch_execz .LBB4_1434
; %bb.1438:                             ;   in Loop: Header=BB4_1436 Depth=1
	v_add_nc_u32_e32 v4, 1, v0
	s_mov_b32 s7, -1
	s_mov_b32 s6, exec_lo
	v_cmpx_lt_i32_e32 0x270e, v0
	s_cbranch_execz .LBB4_1433
; %bb.1439:                             ;   in Loop: Header=BB4_1436 Depth=1
	s_cbranch_execnz .LBB4_1443
; %bb.1440:                             ;   in Loop: Header=BB4_1436 Depth=1
	ds_load_b64 v[4:5], v0
	s_mov_b32 s10, exec_lo
	s_waitcnt lgkmcnt(0)
	s_waitcnt_vscnt null, 0x0
	flat_load_b32 v0, v[4:5] glc
	s_waitcnt vmcnt(0) lgkmcnt(0)
	buffer_gl1_inv
	buffer_gl0_inv
	v_cmpx_ne_u32_e32 0, v0
	s_cbranch_execz .LBB4_1432
; %bb.1441:                             ;   in Loop: Header=BB4_1436 Depth=1
	ds_store_b32 v0, v0
	s_cbranch_execnz .LBB4_1467
; %bb.1442:                             ;   in Loop: Header=BB4_1436 Depth=1
	v_or_b32_e32 v30, 64, v30
	s_xor_b32 s7, exec_lo, -1
	s_branch .LBB4_1432
.LBB4_1443:
	s_trap 2
	s_sendmsg_rtn_b32 s0, sendmsg(MSG_RTN_GET_DOORBELL)
	s_mov_b32 ttmp2, m0
	s_waitcnt lgkmcnt(0)
	s_and_b32 s0, s0, 0x3ff
	s_delay_alu instid0(SALU_CYCLE_1) | instskip(NEXT) | instid1(SALU_CYCLE_1)
	s_bitset1_b32 s0, 10
	s_mov_b32 m0, s0
	s_sendmsg sendmsg(MSG_INTERRUPT)
	s_mov_b32 m0, ttmp2
.LBB4_1444:                             ; =>This Inner Loop Header: Depth=1
	s_sethalt 5
	s_branch .LBB4_1444
.LBB4_1445:
	s_trap 2
	s_sendmsg_rtn_b32 s0, sendmsg(MSG_RTN_GET_DOORBELL)
	s_mov_b32 ttmp2, m0
	s_waitcnt lgkmcnt(0)
	s_and_b32 s0, s0, 0x3ff
	s_delay_alu instid0(SALU_CYCLE_1) | instskip(NEXT) | instid1(SALU_CYCLE_1)
	s_bitset1_b32 s0, 10
	s_mov_b32 m0, s0
	s_sendmsg sendmsg(MSG_INTERRUPT)
	s_mov_b32 m0, ttmp2
.LBB4_1446:                             ; =>This Inner Loop Header: Depth=1
	s_sethalt 5
	s_branch .LBB4_1446
.LBB4_1447:
	s_trap 2
	s_sendmsg_rtn_b32 s0, sendmsg(MSG_RTN_GET_DOORBELL)
	s_mov_b32 ttmp2, m0
	s_waitcnt lgkmcnt(0)
	s_and_b32 s0, s0, 0x3ff
	s_delay_alu instid0(SALU_CYCLE_1) | instskip(NEXT) | instid1(SALU_CYCLE_1)
	s_bitset1_b32 s0, 10
	s_mov_b32 m0, s0
	s_sendmsg sendmsg(MSG_INTERRUPT)
	s_mov_b32 m0, ttmp2
.LBB4_1448:                             ; =>This Inner Loop Header: Depth=1
	s_sethalt 5
	s_branch .LBB4_1448
.LBB4_1449:
	s_or_b32 exec_lo, exec_lo, s2
.LBB4_1450:
	s_delay_alu instid0(SALU_CYCLE_1) | instskip(SKIP_2) | instid1(VALU_DEP_1)
	s_or_b32 exec_lo, exec_lo, s1
	v_and_b32_e32 v0, 0x2000, v30
	s_mov_b32 s1, exec_lo
	v_cmpx_ne_u32_e32 0, v0
	s_cbranch_execz .LBB4_1453
; %bb.1451:
	s_cbranch_execnz .LBB4_1461
; %bb.1452:
	ds_load_b64 v[2:3], v0
	s_waitcnt lgkmcnt(0)
	flat_store_b64 v[26:27], v[2:3] offset:16
.LBB4_1453:
	s_or_b32 exec_lo, exec_lo, s1
	v_cmp_ne_u32_e32 vcc_lo, 32, v1
	s_and_b32 exec_lo, exec_lo, vcc_lo
	s_cbranch_execz .LBB4_1652
; %bb.1454:
	s_mov_b32 s1, exec_lo
	v_cmpx_ne_u32_e64 v87, v1
	s_xor_b32 s1, exec_lo, s1
	s_cbranch_execz .LBB4_1650
; %bb.1455:
	v_and_b32_e32 v0, 31, v31
	s_mov_b32 s2, exec_lo
	s_delay_alu instid0(VALU_DEP_1)
	v_cmpx_eq_u32_e32 0, v0
	s_cbranch_execz .LBB4_1649
; %bb.1456:
	s_mov_b32 s4, exec_lo
	s_mov_b32 s3, exec_lo
	v_mbcnt_lo_u32_b32 v0, s4, 0
	s_waitcnt lgkmcnt(0)
	s_waitcnt_vscnt null, 0x0
	buffer_gl1_inv
	buffer_gl0_inv
	v_cmpx_eq_u32_e32 0, v0
	s_cbranch_execz .LBB4_1458
; %bb.1457:
	s_bcnt1_i32_b32 s4, s4
	s_delay_alu instid0(SALU_CYCLE_1)
	v_dual_mov_b32 v3, 0 :: v_dual_mov_b32 v2, s4
	ds_add_u64 v0, v[2:3]
	s_cbranch_execnz .LBB4_1496
.LBB4_1458:
	s_or_b32 exec_lo, exec_lo, s3
	s_cbranch_execnz .LBB4_1475
; %bb.1459:
	v_ashrrev_i32_e32 v0, 31, v1
	s_mov_b32 s3, exec_lo
	s_delay_alu instid0(VALU_DEP_1) | instskip(NEXT) | instid1(VALU_DEP_1)
	v_lshrrev_b32_e32 v0, 27, v0
	v_add_nc_u32_e32 v0, v1, v0
	ds_load_b64 v[2:3], v0
	v_ashrrev_i32_e32 v0, 5, v0
	s_delay_alu instid0(VALU_DEP_1) | instskip(SKIP_1) | instid1(VALU_DEP_2)
	v_ashrrev_i32_e32 v1, 31, v0
	v_add_co_u32 v0, vcc_lo, v48, v0
	v_add_co_ci_u32_e32 v1, vcc_lo, v49, v1, vcc_lo
	s_waitcnt lgkmcnt(0)
	s_delay_alu instid0(VALU_DEP_1)
	v_cmpx_lt_u64_e64 v[2:3], v[0:1]
	s_cbranch_execz .LBB4_1648
; %bb.1460:
	s_mov_b32 s4, 0
	s_mov_b32 s7, 0
                                        ; implicit-def: $sgpr5
                                        ; implicit-def: $sgpr6
	s_branch .LBB4_1482
.LBB4_1461:
	s_trap 2
	s_sendmsg_rtn_b32 s0, sendmsg(MSG_RTN_GET_DOORBELL)
	s_mov_b32 ttmp2, m0
	s_waitcnt lgkmcnt(0)
	s_and_b32 s0, s0, 0x3ff
	s_delay_alu instid0(SALU_CYCLE_1) | instskip(NEXT) | instid1(SALU_CYCLE_1)
	s_bitset1_b32 s0, 10
	s_mov_b32 m0, s0
	s_sendmsg sendmsg(MSG_INTERRUPT)
	s_mov_b32 m0, ttmp2
.LBB4_1462:                             ; =>This Inner Loop Header: Depth=1
	s_sethalt 5
	s_branch .LBB4_1462
.LBB4_1463:
	s_trap 2
	s_sendmsg_rtn_b32 s0, sendmsg(MSG_RTN_GET_DOORBELL)
	s_mov_b32 ttmp2, m0
	s_waitcnt lgkmcnt(0)
	s_and_b32 s0, s0, 0x3ff
	s_delay_alu instid0(SALU_CYCLE_1) | instskip(NEXT) | instid1(SALU_CYCLE_1)
	s_bitset1_b32 s0, 10
	s_mov_b32 m0, s0
	s_sendmsg sendmsg(MSG_INTERRUPT)
	s_mov_b32 m0, ttmp2
.LBB4_1464:                             ; =>This Inner Loop Header: Depth=1
	s_sethalt 5
	s_branch .LBB4_1464
.LBB4_1465:
	s_trap 2
	s_sendmsg_rtn_b32 s0, sendmsg(MSG_RTN_GET_DOORBELL)
	s_mov_b32 ttmp2, m0
	s_waitcnt lgkmcnt(0)
	s_and_b32 s0, s0, 0x3ff
	s_delay_alu instid0(SALU_CYCLE_1) | instskip(NEXT) | instid1(SALU_CYCLE_1)
	s_bitset1_b32 s0, 10
	s_mov_b32 m0, s0
	s_sendmsg sendmsg(MSG_INTERRUPT)
	s_mov_b32 m0, ttmp2
.LBB4_1466:                             ; =>This Inner Loop Header: Depth=1
	s_sethalt 5
	s_branch .LBB4_1466
.LBB4_1467:
	s_trap 2
	s_sendmsg_rtn_b32 s0, sendmsg(MSG_RTN_GET_DOORBELL)
	s_mov_b32 ttmp2, m0
	s_waitcnt lgkmcnt(0)
	s_and_b32 s0, s0, 0x3ff
	s_delay_alu instid0(SALU_CYCLE_1) | instskip(NEXT) | instid1(SALU_CYCLE_1)
	s_bitset1_b32 s0, 10
	s_mov_b32 m0, s0
	s_sendmsg sendmsg(MSG_INTERRUPT)
	s_mov_b32 m0, ttmp2
.LBB4_1468:                             ; =>This Inner Loop Header: Depth=1
	s_sethalt 5
	s_branch .LBB4_1468
.LBB4_1469:
	s_trap 2
	s_sendmsg_rtn_b32 s0, sendmsg(MSG_RTN_GET_DOORBELL)
	s_mov_b32 ttmp2, m0
	s_waitcnt lgkmcnt(0)
	s_and_b32 s0, s0, 0x3ff
	s_delay_alu instid0(SALU_CYCLE_1) | instskip(NEXT) | instid1(SALU_CYCLE_1)
	s_bitset1_b32 s0, 10
	s_mov_b32 m0, s0
	s_sendmsg sendmsg(MSG_INTERRUPT)
	s_mov_b32 m0, ttmp2
.LBB4_1470:                             ; =>This Inner Loop Header: Depth=1
	s_sethalt 5
	s_branch .LBB4_1470
.LBB4_1471:
	s_trap 2
	s_sendmsg_rtn_b32 s0, sendmsg(MSG_RTN_GET_DOORBELL)
	s_mov_b32 ttmp2, m0
	s_waitcnt lgkmcnt(0)
	s_and_b32 s0, s0, 0x3ff
	s_delay_alu instid0(SALU_CYCLE_1) | instskip(NEXT) | instid1(SALU_CYCLE_1)
	s_bitset1_b32 s0, 10
	s_mov_b32 m0, s0
	s_sendmsg sendmsg(MSG_INTERRUPT)
	s_mov_b32 m0, ttmp2
.LBB4_1472:                             ; =>This Inner Loop Header: Depth=1
	s_sethalt 5
	s_branch .LBB4_1472
.LBB4_1473:
	s_trap 2
	s_sendmsg_rtn_b32 s0, sendmsg(MSG_RTN_GET_DOORBELL)
	s_mov_b32 ttmp2, m0
	s_waitcnt lgkmcnt(0)
	s_and_b32 s0, s0, 0x3ff
	s_delay_alu instid0(SALU_CYCLE_1) | instskip(NEXT) | instid1(SALU_CYCLE_1)
	s_bitset1_b32 s0, 10
	s_mov_b32 m0, s0
	s_sendmsg sendmsg(MSG_INTERRUPT)
	s_mov_b32 m0, ttmp2
.LBB4_1474:                             ; =>This Inner Loop Header: Depth=1
	s_sethalt 5
	s_branch .LBB4_1474
.LBB4_1475:
	s_trap 2
	s_sendmsg_rtn_b32 s0, sendmsg(MSG_RTN_GET_DOORBELL)
	s_mov_b32 ttmp2, m0
	s_waitcnt lgkmcnt(0)
	s_and_b32 s0, s0, 0x3ff
	s_delay_alu instid0(SALU_CYCLE_1) | instskip(NEXT) | instid1(SALU_CYCLE_1)
	s_bitset1_b32 s0, 10
	s_mov_b32 m0, s0
	s_sendmsg sendmsg(MSG_INTERRUPT)
	s_mov_b32 m0, ttmp2
.LBB4_1476:                             ; =>This Inner Loop Header: Depth=1
	s_sethalt 5
	s_branch .LBB4_1476
.LBB4_1477:
	s_trap 2
	s_sendmsg_rtn_b32 s0, sendmsg(MSG_RTN_GET_DOORBELL)
	s_mov_b32 ttmp2, m0
	s_waitcnt lgkmcnt(0)
	s_and_b32 s0, s0, 0x3ff
	s_delay_alu instid0(SALU_CYCLE_1) | instskip(NEXT) | instid1(SALU_CYCLE_1)
	s_bitset1_b32 s0, 10
	s_mov_b32 m0, s0
	s_sendmsg sendmsg(MSG_INTERRUPT)
	s_mov_b32 m0, ttmp2
.LBB4_1478:                             ; =>This Inner Loop Header: Depth=1
	s_sethalt 5
	s_branch .LBB4_1478
.LBB4_1479:
	s_trap 2
	s_sendmsg_rtn_b32 s0, sendmsg(MSG_RTN_GET_DOORBELL)
	s_mov_b32 ttmp2, m0
	s_waitcnt lgkmcnt(0)
	s_and_b32 s0, s0, 0x3ff
	s_delay_alu instid0(SALU_CYCLE_1) | instskip(NEXT) | instid1(SALU_CYCLE_1)
	s_bitset1_b32 s0, 10
	s_mov_b32 m0, s0
	s_sendmsg sendmsg(MSG_INTERRUPT)
	s_mov_b32 m0, ttmp2
.LBB4_1480:                             ; =>This Inner Loop Header: Depth=1
	s_sethalt 5
	s_branch .LBB4_1480
.LBB4_1481:                             ;   in Loop: Header=BB4_1482 Depth=1
	s_or_b32 exec_lo, exec_lo, s12
	s_delay_alu instid0(SALU_CYCLE_1) | instskip(NEXT) | instid1(SALU_CYCLE_1)
	s_and_b32 s10, exec_lo, s11
	s_or_b32 s4, s10, s4
	s_and_not1_b32 s5, s5, exec_lo
	s_and_b32 s10, s6, exec_lo
	s_delay_alu instid0(SALU_CYCLE_1)
	s_or_b32 s5, s5, s10
	s_and_not1_b32 exec_lo, exec_lo, s4
	s_cbranch_execz .LBB4_1646
.LBB4_1482:                             ; =>This Inner Loop Header: Depth=1
	s_add_i32 s7, s7, 1
                                        ; implicit-def: $sgpr11
	s_delay_alu instid0(SALU_CYCLE_1) | instskip(SKIP_1) | instid1(SALU_CYCLE_1)
	s_cmpk_lg_i32 s7, 0x2710
	s_cselect_b32 s10, -1, 0
	s_and_b32 vcc_lo, exec_lo, s10
	s_cbranch_vccz .LBB4_1486
.LBB4_1483:                             ;   in Loop: Header=BB4_1482 Depth=1
	s_and_not1_b32 s6, s6, exec_lo
	s_and_b32 s12, s11, exec_lo
	s_mov_b32 s11, -1
	s_or_b32 s6, s6, s12
	s_and_saveexec_b32 s12, s10
	s_cbranch_execz .LBB4_1481
; %bb.1484:                             ;   in Loop: Header=BB4_1482 Depth=1
	s_sleep 1
	s_cbranch_execnz .LBB4_1534
; %bb.1485:                             ;   in Loop: Header=BB4_1482 Depth=1
	ds_load_b64 v[2:3], v0
	s_and_not1_b32 s6, s6, exec_lo
	s_waitcnt lgkmcnt(0)
	v_cmp_ge_u64_e32 vcc_lo, v[2:3], v[0:1]
	s_or_not1_b32 s11, vcc_lo, exec_lo
	s_branch .LBB4_1481
.LBB4_1486:                             ;   in Loop: Header=BB4_1482 Depth=1
	s_cbranch_execnz .LBB4_1536
; %bb.1487:                             ;   in Loop: Header=BB4_1482 Depth=1
	ds_load_b64 v[2:3], v0
	s_and_not1_b32 s10, s10, exec_lo
	s_mov_b32 s7, 0
	s_mov_b32 s11, -1
	s_waitcnt lgkmcnt(0)
	flat_load_b32 v2, v[2:3] glc
	s_waitcnt vmcnt(0) lgkmcnt(0)
	buffer_gl1_inv
	buffer_gl0_inv
	v_cmp_eq_u32_e32 vcc_lo, 0, v2
	s_and_b32 s12, vcc_lo, exec_lo
	s_delay_alu instid0(SALU_CYCLE_1)
	s_or_b32 s10, s10, s12
	s_branch .LBB4_1483
.LBB4_1488:
	s_trap 2
	s_sendmsg_rtn_b32 s0, sendmsg(MSG_RTN_GET_DOORBELL)
	s_mov_b32 ttmp2, m0
	s_waitcnt lgkmcnt(0)
	s_and_b32 s0, s0, 0x3ff
	s_delay_alu instid0(SALU_CYCLE_1) | instskip(NEXT) | instid1(SALU_CYCLE_1)
	s_bitset1_b32 s0, 10
	s_mov_b32 m0, s0
	s_sendmsg sendmsg(MSG_INTERRUPT)
	s_mov_b32 m0, ttmp2
.LBB4_1489:                             ; =>This Inner Loop Header: Depth=1
	s_sethalt 5
	s_branch .LBB4_1489
.LBB4_1490:
	s_trap 2
	s_sendmsg_rtn_b32 s0, sendmsg(MSG_RTN_GET_DOORBELL)
	s_mov_b32 ttmp2, m0
	s_waitcnt lgkmcnt(0)
	s_and_b32 s0, s0, 0x3ff
	s_delay_alu instid0(SALU_CYCLE_1) | instskip(NEXT) | instid1(SALU_CYCLE_1)
	s_bitset1_b32 s0, 10
	s_mov_b32 m0, s0
	s_sendmsg sendmsg(MSG_INTERRUPT)
	s_mov_b32 m0, ttmp2
.LBB4_1491:                             ; =>This Inner Loop Header: Depth=1
	s_sethalt 5
	s_branch .LBB4_1491
.LBB4_1492:
	s_trap 2
	s_sendmsg_rtn_b32 s0, sendmsg(MSG_RTN_GET_DOORBELL)
	s_mov_b32 ttmp2, m0
	s_waitcnt lgkmcnt(0)
	s_and_b32 s0, s0, 0x3ff
	s_delay_alu instid0(SALU_CYCLE_1) | instskip(NEXT) | instid1(SALU_CYCLE_1)
	s_bitset1_b32 s0, 10
	s_mov_b32 m0, s0
	s_sendmsg sendmsg(MSG_INTERRUPT)
	s_mov_b32 m0, ttmp2
.LBB4_1493:                             ; =>This Inner Loop Header: Depth=1
	s_sethalt 5
	s_branch .LBB4_1493
.LBB4_1494:
	s_trap 2
	s_sendmsg_rtn_b32 s0, sendmsg(MSG_RTN_GET_DOORBELL)
	s_mov_b32 ttmp2, m0
	s_waitcnt lgkmcnt(0)
	s_and_b32 s0, s0, 0x3ff
	s_delay_alu instid0(SALU_CYCLE_1) | instskip(NEXT) | instid1(SALU_CYCLE_1)
	s_bitset1_b32 s0, 10
	s_mov_b32 m0, s0
	s_sendmsg sendmsg(MSG_INTERRUPT)
	s_mov_b32 m0, ttmp2
.LBB4_1495:                             ; =>This Inner Loop Header: Depth=1
	s_sethalt 5
	s_branch .LBB4_1495
.LBB4_1496:
	s_trap 2
	s_sendmsg_rtn_b32 s0, sendmsg(MSG_RTN_GET_DOORBELL)
	s_mov_b32 ttmp2, m0
	s_waitcnt lgkmcnt(0)
	s_and_b32 s0, s0, 0x3ff
	s_delay_alu instid0(SALU_CYCLE_1) | instskip(NEXT) | instid1(SALU_CYCLE_1)
	s_bitset1_b32 s0, 10
	s_mov_b32 m0, s0
	s_sendmsg sendmsg(MSG_INTERRUPT)
	s_mov_b32 m0, ttmp2
.LBB4_1497:                             ; =>This Inner Loop Header: Depth=1
	s_sethalt 5
	s_branch .LBB4_1497
.LBB4_1498:
	s_trap 2
	s_sendmsg_rtn_b32 s0, sendmsg(MSG_RTN_GET_DOORBELL)
	s_mov_b32 ttmp2, m0
	s_waitcnt lgkmcnt(0)
	s_and_b32 s0, s0, 0x3ff
	s_delay_alu instid0(SALU_CYCLE_1) | instskip(NEXT) | instid1(SALU_CYCLE_1)
	s_bitset1_b32 s0, 10
	s_mov_b32 m0, s0
	s_sendmsg sendmsg(MSG_INTERRUPT)
	s_mov_b32 m0, ttmp2
.LBB4_1499:                             ; =>This Inner Loop Header: Depth=1
	s_sethalt 5
	s_branch .LBB4_1499
.LBB4_1500:
	s_trap 2
	s_sendmsg_rtn_b32 s0, sendmsg(MSG_RTN_GET_DOORBELL)
	s_mov_b32 ttmp2, m0
	s_waitcnt lgkmcnt(0)
	s_and_b32 s0, s0, 0x3ff
	s_delay_alu instid0(SALU_CYCLE_1) | instskip(NEXT) | instid1(SALU_CYCLE_1)
	s_bitset1_b32 s0, 10
	s_mov_b32 m0, s0
	s_sendmsg sendmsg(MSG_INTERRUPT)
	s_mov_b32 m0, ttmp2
.LBB4_1501:                             ; =>This Inner Loop Header: Depth=1
	s_sethalt 5
	s_branch .LBB4_1501
.LBB4_1502:
	s_trap 2
	s_sendmsg_rtn_b32 s0, sendmsg(MSG_RTN_GET_DOORBELL)
	s_mov_b32 ttmp2, m0
	s_waitcnt lgkmcnt(0)
	s_and_b32 s0, s0, 0x3ff
	s_delay_alu instid0(SALU_CYCLE_1) | instskip(NEXT) | instid1(SALU_CYCLE_1)
	s_bitset1_b32 s0, 10
	s_mov_b32 m0, s0
	s_sendmsg sendmsg(MSG_INTERRUPT)
	s_mov_b32 m0, ttmp2
.LBB4_1503:                             ; =>This Inner Loop Header: Depth=1
	s_sethalt 5
	s_branch .LBB4_1503
.LBB4_1504:
	s_trap 2
	s_sendmsg_rtn_b32 s0, sendmsg(MSG_RTN_GET_DOORBELL)
	s_mov_b32 ttmp2, m0
	s_waitcnt lgkmcnt(0)
	s_and_b32 s0, s0, 0x3ff
	s_delay_alu instid0(SALU_CYCLE_1) | instskip(NEXT) | instid1(SALU_CYCLE_1)
	s_bitset1_b32 s0, 10
	s_mov_b32 m0, s0
	s_sendmsg sendmsg(MSG_INTERRUPT)
	s_mov_b32 m0, ttmp2
.LBB4_1505:                             ; =>This Inner Loop Header: Depth=1
	s_sethalt 5
	s_branch .LBB4_1505
.LBB4_1506:
	s_trap 2
	s_sendmsg_rtn_b32 s0, sendmsg(MSG_RTN_GET_DOORBELL)
	s_mov_b32 ttmp2, m0
	s_waitcnt lgkmcnt(0)
	s_and_b32 s0, s0, 0x3ff
	s_delay_alu instid0(SALU_CYCLE_1) | instskip(NEXT) | instid1(SALU_CYCLE_1)
	s_bitset1_b32 s0, 10
	s_mov_b32 m0, s0
	s_sendmsg sendmsg(MSG_INTERRUPT)
	s_mov_b32 m0, ttmp2
.LBB4_1507:                             ; =>This Inner Loop Header: Depth=1
	s_sethalt 5
	s_branch .LBB4_1507
.LBB4_1508:
	s_trap 2
	s_sendmsg_rtn_b32 s0, sendmsg(MSG_RTN_GET_DOORBELL)
	s_mov_b32 ttmp2, m0
	s_waitcnt lgkmcnt(0)
	s_and_b32 s0, s0, 0x3ff
	s_delay_alu instid0(SALU_CYCLE_1) | instskip(NEXT) | instid1(SALU_CYCLE_1)
	s_bitset1_b32 s0, 10
	s_mov_b32 m0, s0
	s_sendmsg sendmsg(MSG_INTERRUPT)
	s_mov_b32 m0, ttmp2
.LBB4_1509:                             ; =>This Inner Loop Header: Depth=1
	s_sethalt 5
	s_branch .LBB4_1509
.LBB4_1510:
	s_trap 2
	s_sendmsg_rtn_b32 s0, sendmsg(MSG_RTN_GET_DOORBELL)
	s_mov_b32 ttmp2, m0
	s_waitcnt lgkmcnt(0)
	s_and_b32 s0, s0, 0x3ff
	s_delay_alu instid0(SALU_CYCLE_1) | instskip(NEXT) | instid1(SALU_CYCLE_1)
	s_bitset1_b32 s0, 10
	s_mov_b32 m0, s0
	s_sendmsg sendmsg(MSG_INTERRUPT)
	s_mov_b32 m0, ttmp2
.LBB4_1511:                             ; =>This Inner Loop Header: Depth=1
	s_sethalt 5
	s_branch .LBB4_1511
.LBB4_1512:
	s_trap 2
	s_sendmsg_rtn_b32 s0, sendmsg(MSG_RTN_GET_DOORBELL)
	s_mov_b32 ttmp2, m0
	s_waitcnt lgkmcnt(0)
	s_and_b32 s0, s0, 0x3ff
	s_delay_alu instid0(SALU_CYCLE_1) | instskip(NEXT) | instid1(SALU_CYCLE_1)
	s_bitset1_b32 s0, 10
	s_mov_b32 m0, s0
	s_sendmsg sendmsg(MSG_INTERRUPT)
	s_mov_b32 m0, ttmp2
.LBB4_1513:                             ; =>This Inner Loop Header: Depth=1
	s_sethalt 5
	s_branch .LBB4_1513
.LBB4_1514:
	s_trap 2
	s_sendmsg_rtn_b32 s0, sendmsg(MSG_RTN_GET_DOORBELL)
	s_mov_b32 ttmp2, m0
	s_waitcnt lgkmcnt(0)
	s_and_b32 s0, s0, 0x3ff
	s_delay_alu instid0(SALU_CYCLE_1) | instskip(NEXT) | instid1(SALU_CYCLE_1)
	s_bitset1_b32 s0, 10
	s_mov_b32 m0, s0
	s_sendmsg sendmsg(MSG_INTERRUPT)
	s_mov_b32 m0, ttmp2
.LBB4_1515:                             ; =>This Inner Loop Header: Depth=1
	s_sethalt 5
	s_branch .LBB4_1515
.LBB4_1516:
	s_trap 2
	s_sendmsg_rtn_b32 s0, sendmsg(MSG_RTN_GET_DOORBELL)
	s_mov_b32 ttmp2, m0
	s_waitcnt lgkmcnt(0)
	s_and_b32 s0, s0, 0x3ff
	s_delay_alu instid0(SALU_CYCLE_1) | instskip(NEXT) | instid1(SALU_CYCLE_1)
	s_bitset1_b32 s0, 10
	s_mov_b32 m0, s0
	s_sendmsg sendmsg(MSG_INTERRUPT)
	s_mov_b32 m0, ttmp2
.LBB4_1517:                             ; =>This Inner Loop Header: Depth=1
	s_sethalt 5
	s_branch .LBB4_1517
.LBB4_1518:
	s_trap 2
	s_sendmsg_rtn_b32 s0, sendmsg(MSG_RTN_GET_DOORBELL)
	s_mov_b32 ttmp2, m0
	s_waitcnt lgkmcnt(0)
	s_and_b32 s0, s0, 0x3ff
	s_delay_alu instid0(SALU_CYCLE_1) | instskip(NEXT) | instid1(SALU_CYCLE_1)
	s_bitset1_b32 s0, 10
	s_mov_b32 m0, s0
	s_sendmsg sendmsg(MSG_INTERRUPT)
	s_mov_b32 m0, ttmp2
.LBB4_1519:                             ; =>This Inner Loop Header: Depth=1
	s_sethalt 5
	s_branch .LBB4_1519
.LBB4_1520:
	s_trap 2
	s_sendmsg_rtn_b32 s0, sendmsg(MSG_RTN_GET_DOORBELL)
	s_mov_b32 ttmp2, m0
	s_waitcnt lgkmcnt(0)
	s_and_b32 s0, s0, 0x3ff
	s_delay_alu instid0(SALU_CYCLE_1) | instskip(NEXT) | instid1(SALU_CYCLE_1)
	s_bitset1_b32 s0, 10
	s_mov_b32 m0, s0
	s_sendmsg sendmsg(MSG_INTERRUPT)
	s_mov_b32 m0, ttmp2
.LBB4_1521:                             ; =>This Inner Loop Header: Depth=1
	s_sethalt 5
	s_branch .LBB4_1521
.LBB4_1522:
	s_trap 2
	s_sendmsg_rtn_b32 s0, sendmsg(MSG_RTN_GET_DOORBELL)
	s_mov_b32 ttmp2, m0
	s_waitcnt lgkmcnt(0)
	s_and_b32 s0, s0, 0x3ff
	s_delay_alu instid0(SALU_CYCLE_1) | instskip(NEXT) | instid1(SALU_CYCLE_1)
	s_bitset1_b32 s0, 10
	s_mov_b32 m0, s0
	s_sendmsg sendmsg(MSG_INTERRUPT)
	s_mov_b32 m0, ttmp2
.LBB4_1523:                             ; =>This Inner Loop Header: Depth=1
	s_sethalt 5
	s_branch .LBB4_1523
.LBB4_1524:
	s_trap 2
	s_sendmsg_rtn_b32 s0, sendmsg(MSG_RTN_GET_DOORBELL)
	s_mov_b32 ttmp2, m0
	s_waitcnt lgkmcnt(0)
	s_and_b32 s0, s0, 0x3ff
	s_delay_alu instid0(SALU_CYCLE_1) | instskip(NEXT) | instid1(SALU_CYCLE_1)
	s_bitset1_b32 s0, 10
	s_mov_b32 m0, s0
	s_sendmsg sendmsg(MSG_INTERRUPT)
	s_mov_b32 m0, ttmp2
.LBB4_1525:                             ; =>This Inner Loop Header: Depth=1
	s_sethalt 5
	s_branch .LBB4_1525
.LBB4_1526:
	s_trap 2
	s_sendmsg_rtn_b32 s0, sendmsg(MSG_RTN_GET_DOORBELL)
	s_mov_b32 ttmp2, m0
	s_waitcnt lgkmcnt(0)
	s_and_b32 s0, s0, 0x3ff
	s_delay_alu instid0(SALU_CYCLE_1) | instskip(NEXT) | instid1(SALU_CYCLE_1)
	s_bitset1_b32 s0, 10
	s_mov_b32 m0, s0
	s_sendmsg sendmsg(MSG_INTERRUPT)
	s_mov_b32 m0, ttmp2
.LBB4_1527:                             ; =>This Inner Loop Header: Depth=1
	s_sethalt 5
	s_branch .LBB4_1527
.LBB4_1528:
	s_trap 2
	s_sendmsg_rtn_b32 s0, sendmsg(MSG_RTN_GET_DOORBELL)
	s_mov_b32 ttmp2, m0
	s_waitcnt lgkmcnt(0)
	s_and_b32 s0, s0, 0x3ff
	s_delay_alu instid0(SALU_CYCLE_1) | instskip(NEXT) | instid1(SALU_CYCLE_1)
	s_bitset1_b32 s0, 10
	s_mov_b32 m0, s0
	s_sendmsg sendmsg(MSG_INTERRUPT)
	s_mov_b32 m0, ttmp2
.LBB4_1529:                             ; =>This Inner Loop Header: Depth=1
	s_sethalt 5
	s_branch .LBB4_1529
.LBB4_1530:
	s_trap 2
	s_sendmsg_rtn_b32 s0, sendmsg(MSG_RTN_GET_DOORBELL)
	s_mov_b32 ttmp2, m0
	s_waitcnt lgkmcnt(0)
	s_and_b32 s0, s0, 0x3ff
	s_delay_alu instid0(SALU_CYCLE_1) | instskip(NEXT) | instid1(SALU_CYCLE_1)
	s_bitset1_b32 s0, 10
	s_mov_b32 m0, s0
	s_sendmsg sendmsg(MSG_INTERRUPT)
	s_mov_b32 m0, ttmp2
.LBB4_1531:                             ; =>This Inner Loop Header: Depth=1
	s_sethalt 5
	s_branch .LBB4_1531
.LBB4_1532:
	s_trap 2
	s_sendmsg_rtn_b32 s0, sendmsg(MSG_RTN_GET_DOORBELL)
	s_mov_b32 ttmp2, m0
	s_waitcnt lgkmcnt(0)
	s_and_b32 s0, s0, 0x3ff
	s_delay_alu instid0(SALU_CYCLE_1) | instskip(NEXT) | instid1(SALU_CYCLE_1)
	s_bitset1_b32 s0, 10
	s_mov_b32 m0, s0
	s_sendmsg sendmsg(MSG_INTERRUPT)
	s_mov_b32 m0, ttmp2
.LBB4_1533:                             ; =>This Inner Loop Header: Depth=1
	s_sethalt 5
	s_branch .LBB4_1533
.LBB4_1534:
	s_trap 2
	s_sendmsg_rtn_b32 s0, sendmsg(MSG_RTN_GET_DOORBELL)
	s_mov_b32 ttmp2, m0
	s_waitcnt lgkmcnt(0)
	s_and_b32 s0, s0, 0x3ff
	s_delay_alu instid0(SALU_CYCLE_1) | instskip(NEXT) | instid1(SALU_CYCLE_1)
	s_bitset1_b32 s0, 10
	s_mov_b32 m0, s0
	s_sendmsg sendmsg(MSG_INTERRUPT)
	s_mov_b32 m0, ttmp2
.LBB4_1535:                             ; =>This Inner Loop Header: Depth=1
	s_sethalt 5
	s_branch .LBB4_1535
.LBB4_1536:
	s_trap 2
	s_sendmsg_rtn_b32 s0, sendmsg(MSG_RTN_GET_DOORBELL)
	s_mov_b32 ttmp2, m0
	s_waitcnt lgkmcnt(0)
	s_and_b32 s0, s0, 0x3ff
	s_delay_alu instid0(SALU_CYCLE_1) | instskip(NEXT) | instid1(SALU_CYCLE_1)
	s_bitset1_b32 s0, 10
	s_mov_b32 m0, s0
	s_sendmsg sendmsg(MSG_INTERRUPT)
	s_mov_b32 m0, ttmp2
.LBB4_1537:                             ; =>This Inner Loop Header: Depth=1
	s_sethalt 5
	s_branch .LBB4_1537
.LBB4_1538:
	s_trap 2
	s_sendmsg_rtn_b32 s0, sendmsg(MSG_RTN_GET_DOORBELL)
	s_mov_b32 ttmp2, m0
	s_waitcnt lgkmcnt(0)
	s_and_b32 s0, s0, 0x3ff
	s_delay_alu instid0(SALU_CYCLE_1) | instskip(NEXT) | instid1(SALU_CYCLE_1)
	s_bitset1_b32 s0, 10
	s_mov_b32 m0, s0
	s_sendmsg sendmsg(MSG_INTERRUPT)
	s_mov_b32 m0, ttmp2
.LBB4_1539:                             ; =>This Inner Loop Header: Depth=1
	s_sethalt 5
	s_branch .LBB4_1539
.LBB4_1540:
	s_trap 2
	s_sendmsg_rtn_b32 s0, sendmsg(MSG_RTN_GET_DOORBELL)
	s_mov_b32 ttmp2, m0
	s_waitcnt lgkmcnt(0)
	s_and_b32 s0, s0, 0x3ff
	s_delay_alu instid0(SALU_CYCLE_1) | instskip(NEXT) | instid1(SALU_CYCLE_1)
	s_bitset1_b32 s0, 10
	s_mov_b32 m0, s0
	s_sendmsg sendmsg(MSG_INTERRUPT)
	s_mov_b32 m0, ttmp2
.LBB4_1541:                             ; =>This Inner Loop Header: Depth=1
	s_sethalt 5
	s_branch .LBB4_1541
.LBB4_1542:
	s_trap 2
	s_sendmsg_rtn_b32 s0, sendmsg(MSG_RTN_GET_DOORBELL)
	s_mov_b32 ttmp2, m0
	s_waitcnt lgkmcnt(0)
	s_and_b32 s0, s0, 0x3ff
	s_delay_alu instid0(SALU_CYCLE_1) | instskip(NEXT) | instid1(SALU_CYCLE_1)
	s_bitset1_b32 s0, 10
	s_mov_b32 m0, s0
	s_sendmsg sendmsg(MSG_INTERRUPT)
	s_mov_b32 m0, ttmp2
.LBB4_1543:                             ; =>This Inner Loop Header: Depth=1
	s_sethalt 5
	s_branch .LBB4_1543
.LBB4_1544:
	s_trap 2
	s_sendmsg_rtn_b32 s0, sendmsg(MSG_RTN_GET_DOORBELL)
	s_mov_b32 ttmp2, m0
	s_waitcnt lgkmcnt(0)
	s_and_b32 s0, s0, 0x3ff
	s_delay_alu instid0(SALU_CYCLE_1) | instskip(NEXT) | instid1(SALU_CYCLE_1)
	s_bitset1_b32 s0, 10
	s_mov_b32 m0, s0
	s_sendmsg sendmsg(MSG_INTERRUPT)
	s_mov_b32 m0, ttmp2
.LBB4_1545:                             ; =>This Inner Loop Header: Depth=1
	s_sethalt 5
	s_branch .LBB4_1545
.LBB4_1546:
	s_trap 2
	s_sendmsg_rtn_b32 s0, sendmsg(MSG_RTN_GET_DOORBELL)
	s_mov_b32 ttmp2, m0
	s_waitcnt lgkmcnt(0)
	s_and_b32 s0, s0, 0x3ff
	s_delay_alu instid0(SALU_CYCLE_1) | instskip(NEXT) | instid1(SALU_CYCLE_1)
	s_bitset1_b32 s0, 10
	s_mov_b32 m0, s0
	s_sendmsg sendmsg(MSG_INTERRUPT)
	s_mov_b32 m0, ttmp2
.LBB4_1547:                             ; =>This Inner Loop Header: Depth=1
	s_sethalt 5
	s_branch .LBB4_1547
.LBB4_1548:
	s_trap 2
	s_sendmsg_rtn_b32 s0, sendmsg(MSG_RTN_GET_DOORBELL)
	s_mov_b32 ttmp2, m0
	s_waitcnt lgkmcnt(0)
	s_and_b32 s0, s0, 0x3ff
	s_delay_alu instid0(SALU_CYCLE_1) | instskip(NEXT) | instid1(SALU_CYCLE_1)
	s_bitset1_b32 s0, 10
	s_mov_b32 m0, s0
	s_sendmsg sendmsg(MSG_INTERRUPT)
	s_mov_b32 m0, ttmp2
.LBB4_1549:                             ; =>This Inner Loop Header: Depth=1
	s_sethalt 5
	s_branch .LBB4_1549
.LBB4_1550:
	s_trap 2
	s_sendmsg_rtn_b32 s0, sendmsg(MSG_RTN_GET_DOORBELL)
	s_mov_b32 ttmp2, m0
	s_waitcnt lgkmcnt(0)
	s_and_b32 s0, s0, 0x3ff
	s_delay_alu instid0(SALU_CYCLE_1) | instskip(NEXT) | instid1(SALU_CYCLE_1)
	s_bitset1_b32 s0, 10
	s_mov_b32 m0, s0
	s_sendmsg sendmsg(MSG_INTERRUPT)
	s_mov_b32 m0, ttmp2
.LBB4_1551:                             ; =>This Inner Loop Header: Depth=1
	s_sethalt 5
	s_branch .LBB4_1551
.LBB4_1552:
	s_trap 2
	s_sendmsg_rtn_b32 s0, sendmsg(MSG_RTN_GET_DOORBELL)
	s_mov_b32 ttmp2, m0
	s_waitcnt lgkmcnt(0)
	s_and_b32 s0, s0, 0x3ff
	s_delay_alu instid0(SALU_CYCLE_1) | instskip(NEXT) | instid1(SALU_CYCLE_1)
	s_bitset1_b32 s0, 10
	s_mov_b32 m0, s0
	s_sendmsg sendmsg(MSG_INTERRUPT)
	s_mov_b32 m0, ttmp2
.LBB4_1553:                             ; =>This Inner Loop Header: Depth=1
	s_sethalt 5
	s_branch .LBB4_1553
.LBB4_1554:
	s_trap 2
	s_sendmsg_rtn_b32 s0, sendmsg(MSG_RTN_GET_DOORBELL)
	s_mov_b32 ttmp2, m0
	s_waitcnt lgkmcnt(0)
	s_and_b32 s0, s0, 0x3ff
	s_delay_alu instid0(SALU_CYCLE_1) | instskip(NEXT) | instid1(SALU_CYCLE_1)
	s_bitset1_b32 s0, 10
	s_mov_b32 m0, s0
	s_sendmsg sendmsg(MSG_INTERRUPT)
	s_mov_b32 m0, ttmp2
.LBB4_1555:                             ; =>This Inner Loop Header: Depth=1
	s_sethalt 5
	s_branch .LBB4_1555
.LBB4_1556:
	s_trap 2
	s_sendmsg_rtn_b32 s0, sendmsg(MSG_RTN_GET_DOORBELL)
	s_mov_b32 ttmp2, m0
	s_waitcnt lgkmcnt(0)
	s_and_b32 s0, s0, 0x3ff
	s_delay_alu instid0(SALU_CYCLE_1) | instskip(NEXT) | instid1(SALU_CYCLE_1)
	s_bitset1_b32 s0, 10
	s_mov_b32 m0, s0
	s_sendmsg sendmsg(MSG_INTERRUPT)
	s_mov_b32 m0, ttmp2
.LBB4_1557:                             ; =>This Inner Loop Header: Depth=1
	s_sethalt 5
	s_branch .LBB4_1557
.LBB4_1558:
	s_trap 2
	s_sendmsg_rtn_b32 s0, sendmsg(MSG_RTN_GET_DOORBELL)
	s_mov_b32 ttmp2, m0
	s_waitcnt lgkmcnt(0)
	s_and_b32 s0, s0, 0x3ff
	s_delay_alu instid0(SALU_CYCLE_1) | instskip(NEXT) | instid1(SALU_CYCLE_1)
	s_bitset1_b32 s0, 10
	s_mov_b32 m0, s0
	s_sendmsg sendmsg(MSG_INTERRUPT)
	s_mov_b32 m0, ttmp2
.LBB4_1559:                             ; =>This Inner Loop Header: Depth=1
	s_sethalt 5
	s_branch .LBB4_1559
.LBB4_1560:
	s_trap 2
	s_sendmsg_rtn_b32 s0, sendmsg(MSG_RTN_GET_DOORBELL)
	s_mov_b32 ttmp2, m0
	s_waitcnt lgkmcnt(0)
	s_and_b32 s0, s0, 0x3ff
	s_delay_alu instid0(SALU_CYCLE_1) | instskip(NEXT) | instid1(SALU_CYCLE_1)
	s_bitset1_b32 s0, 10
	s_mov_b32 m0, s0
	s_sendmsg sendmsg(MSG_INTERRUPT)
	s_mov_b32 m0, ttmp2
.LBB4_1561:                             ; =>This Inner Loop Header: Depth=1
	s_sethalt 5
	s_branch .LBB4_1561
.LBB4_1562:
	s_trap 2
	s_sendmsg_rtn_b32 s0, sendmsg(MSG_RTN_GET_DOORBELL)
	s_mov_b32 ttmp2, m0
	s_waitcnt lgkmcnt(0)
	s_and_b32 s0, s0, 0x3ff
	s_delay_alu instid0(SALU_CYCLE_1) | instskip(NEXT) | instid1(SALU_CYCLE_1)
	s_bitset1_b32 s0, 10
	s_mov_b32 m0, s0
	s_sendmsg sendmsg(MSG_INTERRUPT)
	s_mov_b32 m0, ttmp2
.LBB4_1563:                             ; =>This Inner Loop Header: Depth=1
	s_sethalt 5
	s_branch .LBB4_1563
.LBB4_1564:
	s_trap 2
	s_sendmsg_rtn_b32 s0, sendmsg(MSG_RTN_GET_DOORBELL)
	s_mov_b32 ttmp2, m0
	s_waitcnt lgkmcnt(0)
	s_and_b32 s0, s0, 0x3ff
	s_delay_alu instid0(SALU_CYCLE_1) | instskip(NEXT) | instid1(SALU_CYCLE_1)
	s_bitset1_b32 s0, 10
	s_mov_b32 m0, s0
	s_sendmsg sendmsg(MSG_INTERRUPT)
	s_mov_b32 m0, ttmp2
.LBB4_1565:                             ; =>This Inner Loop Header: Depth=1
	s_sethalt 5
	s_branch .LBB4_1565
.LBB4_1566:
	s_trap 2
	s_sendmsg_rtn_b32 s0, sendmsg(MSG_RTN_GET_DOORBELL)
	s_mov_b32 ttmp2, m0
	s_waitcnt lgkmcnt(0)
	s_and_b32 s0, s0, 0x3ff
	s_delay_alu instid0(SALU_CYCLE_1) | instskip(NEXT) | instid1(SALU_CYCLE_1)
	s_bitset1_b32 s0, 10
	s_mov_b32 m0, s0
	s_sendmsg sendmsg(MSG_INTERRUPT)
	s_mov_b32 m0, ttmp2
.LBB4_1567:                             ; =>This Inner Loop Header: Depth=1
	s_sethalt 5
	s_branch .LBB4_1567
.LBB4_1568:
	s_trap 2
	s_sendmsg_rtn_b32 s0, sendmsg(MSG_RTN_GET_DOORBELL)
	s_mov_b32 ttmp2, m0
	s_waitcnt lgkmcnt(0)
	s_and_b32 s0, s0, 0x3ff
	s_delay_alu instid0(SALU_CYCLE_1) | instskip(NEXT) | instid1(SALU_CYCLE_1)
	s_bitset1_b32 s0, 10
	s_mov_b32 m0, s0
	s_sendmsg sendmsg(MSG_INTERRUPT)
	s_mov_b32 m0, ttmp2
.LBB4_1569:                             ; =>This Inner Loop Header: Depth=1
	s_sethalt 5
	s_branch .LBB4_1569
.LBB4_1570:
	s_trap 2
	s_sendmsg_rtn_b32 s0, sendmsg(MSG_RTN_GET_DOORBELL)
	s_mov_b32 ttmp2, m0
	s_waitcnt lgkmcnt(0)
	s_and_b32 s0, s0, 0x3ff
	s_delay_alu instid0(SALU_CYCLE_1) | instskip(NEXT) | instid1(SALU_CYCLE_1)
	s_bitset1_b32 s0, 10
	s_mov_b32 m0, s0
	s_sendmsg sendmsg(MSG_INTERRUPT)
	s_mov_b32 m0, ttmp2
.LBB4_1571:                             ; =>This Inner Loop Header: Depth=1
	s_sethalt 5
	s_branch .LBB4_1571
.LBB4_1572:
	s_trap 2
	s_sendmsg_rtn_b32 s0, sendmsg(MSG_RTN_GET_DOORBELL)
	s_mov_b32 ttmp2, m0
	s_waitcnt lgkmcnt(0)
	s_and_b32 s0, s0, 0x3ff
	s_delay_alu instid0(SALU_CYCLE_1) | instskip(NEXT) | instid1(SALU_CYCLE_1)
	s_bitset1_b32 s0, 10
	s_mov_b32 m0, s0
	s_sendmsg sendmsg(MSG_INTERRUPT)
	s_mov_b32 m0, ttmp2
.LBB4_1573:                             ; =>This Inner Loop Header: Depth=1
	s_sethalt 5
	s_branch .LBB4_1573
.LBB4_1574:
	s_trap 2
	s_sendmsg_rtn_b32 s0, sendmsg(MSG_RTN_GET_DOORBELL)
	s_mov_b32 ttmp2, m0
	s_waitcnt lgkmcnt(0)
	s_and_b32 s0, s0, 0x3ff
	s_delay_alu instid0(SALU_CYCLE_1) | instskip(NEXT) | instid1(SALU_CYCLE_1)
	s_bitset1_b32 s0, 10
	s_mov_b32 m0, s0
	s_sendmsg sendmsg(MSG_INTERRUPT)
	s_mov_b32 m0, ttmp2
.LBB4_1575:                             ; =>This Inner Loop Header: Depth=1
	s_sethalt 5
	s_branch .LBB4_1575
.LBB4_1576:
	s_trap 2
	s_sendmsg_rtn_b32 s0, sendmsg(MSG_RTN_GET_DOORBELL)
	s_mov_b32 ttmp2, m0
	s_waitcnt lgkmcnt(0)
	s_and_b32 s0, s0, 0x3ff
	s_delay_alu instid0(SALU_CYCLE_1) | instskip(NEXT) | instid1(SALU_CYCLE_1)
	s_bitset1_b32 s0, 10
	s_mov_b32 m0, s0
	s_sendmsg sendmsg(MSG_INTERRUPT)
	s_mov_b32 m0, ttmp2
.LBB4_1577:                             ; =>This Inner Loop Header: Depth=1
	s_sethalt 5
	s_branch .LBB4_1577
.LBB4_1578:
	s_trap 2
	s_sendmsg_rtn_b32 s0, sendmsg(MSG_RTN_GET_DOORBELL)
	s_mov_b32 ttmp2, m0
	s_waitcnt lgkmcnt(0)
	s_and_b32 s0, s0, 0x3ff
	s_delay_alu instid0(SALU_CYCLE_1) | instskip(NEXT) | instid1(SALU_CYCLE_1)
	s_bitset1_b32 s0, 10
	s_mov_b32 m0, s0
	s_sendmsg sendmsg(MSG_INTERRUPT)
	s_mov_b32 m0, ttmp2
.LBB4_1579:                             ; =>This Inner Loop Header: Depth=1
	s_sethalt 5
	s_branch .LBB4_1579
.LBB4_1580:
	s_trap 2
	s_sendmsg_rtn_b32 s0, sendmsg(MSG_RTN_GET_DOORBELL)
	s_mov_b32 ttmp2, m0
	s_waitcnt lgkmcnt(0)
	s_and_b32 s0, s0, 0x3ff
	s_delay_alu instid0(SALU_CYCLE_1) | instskip(NEXT) | instid1(SALU_CYCLE_1)
	s_bitset1_b32 s0, 10
	s_mov_b32 m0, s0
	s_sendmsg sendmsg(MSG_INTERRUPT)
	s_mov_b32 m0, ttmp2
.LBB4_1581:                             ; =>This Inner Loop Header: Depth=1
	s_sethalt 5
	s_branch .LBB4_1581
.LBB4_1582:
	s_trap 2
	s_sendmsg_rtn_b32 s0, sendmsg(MSG_RTN_GET_DOORBELL)
	s_mov_b32 ttmp2, m0
	s_waitcnt lgkmcnt(0)
	s_and_b32 s0, s0, 0x3ff
	s_delay_alu instid0(SALU_CYCLE_1) | instskip(NEXT) | instid1(SALU_CYCLE_1)
	s_bitset1_b32 s0, 10
	s_mov_b32 m0, s0
	s_sendmsg sendmsg(MSG_INTERRUPT)
	s_mov_b32 m0, ttmp2
.LBB4_1583:                             ; =>This Inner Loop Header: Depth=1
	s_sethalt 5
	s_branch .LBB4_1583
.LBB4_1584:
	s_trap 2
	s_sendmsg_rtn_b32 s0, sendmsg(MSG_RTN_GET_DOORBELL)
	s_mov_b32 ttmp2, m0
	s_waitcnt lgkmcnt(0)
	s_and_b32 s0, s0, 0x3ff
	s_delay_alu instid0(SALU_CYCLE_1) | instskip(NEXT) | instid1(SALU_CYCLE_1)
	s_bitset1_b32 s0, 10
	s_mov_b32 m0, s0
	s_sendmsg sendmsg(MSG_INTERRUPT)
	s_mov_b32 m0, ttmp2
.LBB4_1585:                             ; =>This Inner Loop Header: Depth=1
	s_sethalt 5
	s_branch .LBB4_1585
.LBB4_1586:
	s_trap 2
	s_sendmsg_rtn_b32 s0, sendmsg(MSG_RTN_GET_DOORBELL)
	s_mov_b32 ttmp2, m0
	s_waitcnt lgkmcnt(0)
	s_and_b32 s0, s0, 0x3ff
	s_delay_alu instid0(SALU_CYCLE_1) | instskip(NEXT) | instid1(SALU_CYCLE_1)
	s_bitset1_b32 s0, 10
	s_mov_b32 m0, s0
	s_sendmsg sendmsg(MSG_INTERRUPT)
	s_mov_b32 m0, ttmp2
.LBB4_1587:                             ; =>This Inner Loop Header: Depth=1
	s_sethalt 5
	s_branch .LBB4_1587
.LBB4_1588:
	s_trap 2
	s_sendmsg_rtn_b32 s0, sendmsg(MSG_RTN_GET_DOORBELL)
	s_mov_b32 ttmp2, m0
	s_waitcnt lgkmcnt(0)
	s_and_b32 s0, s0, 0x3ff
	s_delay_alu instid0(SALU_CYCLE_1) | instskip(NEXT) | instid1(SALU_CYCLE_1)
	s_bitset1_b32 s0, 10
	s_mov_b32 m0, s0
	s_sendmsg sendmsg(MSG_INTERRUPT)
	s_mov_b32 m0, ttmp2
.LBB4_1589:                             ; =>This Inner Loop Header: Depth=1
	s_sethalt 5
	s_branch .LBB4_1589
.LBB4_1590:
	s_trap 2
	s_sendmsg_rtn_b32 s0, sendmsg(MSG_RTN_GET_DOORBELL)
	s_mov_b32 ttmp2, m0
	s_waitcnt lgkmcnt(0)
	s_and_b32 s0, s0, 0x3ff
	s_delay_alu instid0(SALU_CYCLE_1) | instskip(NEXT) | instid1(SALU_CYCLE_1)
	s_bitset1_b32 s0, 10
	s_mov_b32 m0, s0
	s_sendmsg sendmsg(MSG_INTERRUPT)
	s_mov_b32 m0, ttmp2
.LBB4_1591:                             ; =>This Inner Loop Header: Depth=1
	s_sethalt 5
	s_branch .LBB4_1591
.LBB4_1592:
	s_trap 2
	s_sendmsg_rtn_b32 s0, sendmsg(MSG_RTN_GET_DOORBELL)
	s_mov_b32 ttmp2, m0
	s_waitcnt lgkmcnt(0)
	s_and_b32 s0, s0, 0x3ff
	s_delay_alu instid0(SALU_CYCLE_1) | instskip(NEXT) | instid1(SALU_CYCLE_1)
	s_bitset1_b32 s0, 10
	s_mov_b32 m0, s0
	s_sendmsg sendmsg(MSG_INTERRUPT)
	s_mov_b32 m0, ttmp2
.LBB4_1593:                             ; =>This Inner Loop Header: Depth=1
	s_sethalt 5
	s_branch .LBB4_1593
.LBB4_1594:
	s_trap 2
	s_sendmsg_rtn_b32 s0, sendmsg(MSG_RTN_GET_DOORBELL)
	s_mov_b32 ttmp2, m0
	s_waitcnt lgkmcnt(0)
	s_and_b32 s0, s0, 0x3ff
	s_delay_alu instid0(SALU_CYCLE_1) | instskip(NEXT) | instid1(SALU_CYCLE_1)
	s_bitset1_b32 s0, 10
	s_mov_b32 m0, s0
	s_sendmsg sendmsg(MSG_INTERRUPT)
	s_mov_b32 m0, ttmp2
.LBB4_1595:                             ; =>This Inner Loop Header: Depth=1
	s_sethalt 5
	s_branch .LBB4_1595
.LBB4_1596:
	s_trap 2
	s_sendmsg_rtn_b32 s0, sendmsg(MSG_RTN_GET_DOORBELL)
	s_mov_b32 ttmp2, m0
	s_waitcnt lgkmcnt(0)
	s_and_b32 s0, s0, 0x3ff
	s_delay_alu instid0(SALU_CYCLE_1) | instskip(NEXT) | instid1(SALU_CYCLE_1)
	s_bitset1_b32 s0, 10
	s_mov_b32 m0, s0
	s_sendmsg sendmsg(MSG_INTERRUPT)
	s_mov_b32 m0, ttmp2
.LBB4_1597:                             ; =>This Inner Loop Header: Depth=1
	s_sethalt 5
	s_branch .LBB4_1597
.LBB4_1598:
	s_trap 2
	s_sendmsg_rtn_b32 s0, sendmsg(MSG_RTN_GET_DOORBELL)
	s_mov_b32 ttmp2, m0
	s_waitcnt lgkmcnt(0)
	s_and_b32 s0, s0, 0x3ff
	s_delay_alu instid0(SALU_CYCLE_1) | instskip(NEXT) | instid1(SALU_CYCLE_1)
	s_bitset1_b32 s0, 10
	s_mov_b32 m0, s0
	s_sendmsg sendmsg(MSG_INTERRUPT)
	s_mov_b32 m0, ttmp2
.LBB4_1599:                             ; =>This Inner Loop Header: Depth=1
	s_sethalt 5
	s_branch .LBB4_1599
.LBB4_1600:
	s_trap 2
	s_sendmsg_rtn_b32 s0, sendmsg(MSG_RTN_GET_DOORBELL)
	s_mov_b32 ttmp2, m0
	s_waitcnt lgkmcnt(0)
	s_and_b32 s0, s0, 0x3ff
	s_delay_alu instid0(SALU_CYCLE_1) | instskip(NEXT) | instid1(SALU_CYCLE_1)
	s_bitset1_b32 s0, 10
	s_mov_b32 m0, s0
	s_sendmsg sendmsg(MSG_INTERRUPT)
	s_mov_b32 m0, ttmp2
.LBB4_1601:                             ; =>This Inner Loop Header: Depth=1
	s_sethalt 5
	s_branch .LBB4_1601
.LBB4_1602:
	s_trap 2
	s_sendmsg_rtn_b32 s0, sendmsg(MSG_RTN_GET_DOORBELL)
	s_mov_b32 ttmp2, m0
	s_waitcnt lgkmcnt(0)
	s_and_b32 s0, s0, 0x3ff
	s_delay_alu instid0(SALU_CYCLE_1) | instskip(NEXT) | instid1(SALU_CYCLE_1)
	s_bitset1_b32 s0, 10
	s_mov_b32 m0, s0
	s_sendmsg sendmsg(MSG_INTERRUPT)
	s_mov_b32 m0, ttmp2
.LBB4_1603:                             ; =>This Inner Loop Header: Depth=1
	s_sethalt 5
	s_branch .LBB4_1603
.LBB4_1604:
	s_trap 2
	s_sendmsg_rtn_b32 s0, sendmsg(MSG_RTN_GET_DOORBELL)
	s_mov_b32 ttmp2, m0
	s_waitcnt lgkmcnt(0)
	s_and_b32 s0, s0, 0x3ff
	s_delay_alu instid0(SALU_CYCLE_1) | instskip(NEXT) | instid1(SALU_CYCLE_1)
	s_bitset1_b32 s0, 10
	s_mov_b32 m0, s0
	s_sendmsg sendmsg(MSG_INTERRUPT)
	s_mov_b32 m0, ttmp2
.LBB4_1605:                             ; =>This Inner Loop Header: Depth=1
	s_sethalt 5
	s_branch .LBB4_1605
.LBB4_1606:
	s_trap 2
	s_sendmsg_rtn_b32 s0, sendmsg(MSG_RTN_GET_DOORBELL)
	s_mov_b32 ttmp2, m0
	s_waitcnt lgkmcnt(0)
	s_and_b32 s0, s0, 0x3ff
	s_delay_alu instid0(SALU_CYCLE_1) | instskip(NEXT) | instid1(SALU_CYCLE_1)
	s_bitset1_b32 s0, 10
	s_mov_b32 m0, s0
	s_sendmsg sendmsg(MSG_INTERRUPT)
	s_mov_b32 m0, ttmp2
.LBB4_1607:                             ; =>This Inner Loop Header: Depth=1
	s_sethalt 5
	s_branch .LBB4_1607
.LBB4_1608:
	s_trap 2
	s_sendmsg_rtn_b32 s0, sendmsg(MSG_RTN_GET_DOORBELL)
	s_mov_b32 ttmp2, m0
	s_waitcnt lgkmcnt(0)
	s_and_b32 s0, s0, 0x3ff
	s_delay_alu instid0(SALU_CYCLE_1) | instskip(NEXT) | instid1(SALU_CYCLE_1)
	s_bitset1_b32 s0, 10
	s_mov_b32 m0, s0
	s_sendmsg sendmsg(MSG_INTERRUPT)
	s_mov_b32 m0, ttmp2
.LBB4_1609:                             ; =>This Inner Loop Header: Depth=1
	s_sethalt 5
	s_branch .LBB4_1609
.LBB4_1610:
	s_trap 2
	s_sendmsg_rtn_b32 s0, sendmsg(MSG_RTN_GET_DOORBELL)
	s_mov_b32 ttmp2, m0
	s_waitcnt lgkmcnt(0)
	s_and_b32 s0, s0, 0x3ff
	s_delay_alu instid0(SALU_CYCLE_1) | instskip(NEXT) | instid1(SALU_CYCLE_1)
	s_bitset1_b32 s0, 10
	s_mov_b32 m0, s0
	s_sendmsg sendmsg(MSG_INTERRUPT)
	s_mov_b32 m0, ttmp2
.LBB4_1611:                             ; =>This Inner Loop Header: Depth=1
	s_sethalt 5
	s_branch .LBB4_1611
.LBB4_1612:
	s_trap 2
	s_sendmsg_rtn_b32 s0, sendmsg(MSG_RTN_GET_DOORBELL)
	s_mov_b32 ttmp2, m0
	s_waitcnt lgkmcnt(0)
	s_and_b32 s0, s0, 0x3ff
	s_delay_alu instid0(SALU_CYCLE_1) | instskip(NEXT) | instid1(SALU_CYCLE_1)
	s_bitset1_b32 s0, 10
	s_mov_b32 m0, s0
	s_sendmsg sendmsg(MSG_INTERRUPT)
	s_mov_b32 m0, ttmp2
.LBB4_1613:                             ; =>This Inner Loop Header: Depth=1
	s_sethalt 5
	s_branch .LBB4_1613
.LBB4_1614:
	s_trap 2
	s_sendmsg_rtn_b32 s0, sendmsg(MSG_RTN_GET_DOORBELL)
	s_mov_b32 ttmp2, m0
	s_waitcnt lgkmcnt(0)
	s_and_b32 s0, s0, 0x3ff
	s_delay_alu instid0(SALU_CYCLE_1) | instskip(NEXT) | instid1(SALU_CYCLE_1)
	s_bitset1_b32 s0, 10
	s_mov_b32 m0, s0
	s_sendmsg sendmsg(MSG_INTERRUPT)
	s_mov_b32 m0, ttmp2
.LBB4_1615:                             ; =>This Inner Loop Header: Depth=1
	s_sethalt 5
	s_branch .LBB4_1615
.LBB4_1616:
	s_trap 2
	s_sendmsg_rtn_b32 s0, sendmsg(MSG_RTN_GET_DOORBELL)
	s_mov_b32 ttmp2, m0
	s_waitcnt lgkmcnt(0)
	s_and_b32 s0, s0, 0x3ff
	s_delay_alu instid0(SALU_CYCLE_1) | instskip(NEXT) | instid1(SALU_CYCLE_1)
	s_bitset1_b32 s0, 10
	s_mov_b32 m0, s0
	s_sendmsg sendmsg(MSG_INTERRUPT)
	s_mov_b32 m0, ttmp2
.LBB4_1617:                             ; =>This Inner Loop Header: Depth=1
	s_sethalt 5
	s_branch .LBB4_1617
.LBB4_1618:
	s_trap 2
	s_sendmsg_rtn_b32 s0, sendmsg(MSG_RTN_GET_DOORBELL)
	s_mov_b32 ttmp2, m0
	s_waitcnt lgkmcnt(0)
	s_and_b32 s0, s0, 0x3ff
	s_delay_alu instid0(SALU_CYCLE_1) | instskip(NEXT) | instid1(SALU_CYCLE_1)
	s_bitset1_b32 s0, 10
	s_mov_b32 m0, s0
	s_sendmsg sendmsg(MSG_INTERRUPT)
	s_mov_b32 m0, ttmp2
.LBB4_1619:                             ; =>This Inner Loop Header: Depth=1
	s_sethalt 5
	s_branch .LBB4_1619
.LBB4_1620:
	s_trap 2
	s_sendmsg_rtn_b32 s0, sendmsg(MSG_RTN_GET_DOORBELL)
	s_mov_b32 ttmp2, m0
	s_waitcnt lgkmcnt(0)
	s_and_b32 s0, s0, 0x3ff
	s_delay_alu instid0(SALU_CYCLE_1) | instskip(NEXT) | instid1(SALU_CYCLE_1)
	s_bitset1_b32 s0, 10
	s_mov_b32 m0, s0
	s_sendmsg sendmsg(MSG_INTERRUPT)
	s_mov_b32 m0, ttmp2
.LBB4_1621:                             ; =>This Inner Loop Header: Depth=1
	s_sethalt 5
	s_branch .LBB4_1621
.LBB4_1622:
	s_trap 2
	s_sendmsg_rtn_b32 s0, sendmsg(MSG_RTN_GET_DOORBELL)
	s_mov_b32 ttmp2, m0
	s_waitcnt lgkmcnt(0)
	s_and_b32 s0, s0, 0x3ff
	s_delay_alu instid0(SALU_CYCLE_1) | instskip(NEXT) | instid1(SALU_CYCLE_1)
	s_bitset1_b32 s0, 10
	s_mov_b32 m0, s0
	s_sendmsg sendmsg(MSG_INTERRUPT)
	s_mov_b32 m0, ttmp2
.LBB4_1623:                             ; =>This Inner Loop Header: Depth=1
	s_sethalt 5
	s_branch .LBB4_1623
.LBB4_1624:
	s_trap 2
	s_sendmsg_rtn_b32 s0, sendmsg(MSG_RTN_GET_DOORBELL)
	s_mov_b32 ttmp2, m0
	s_waitcnt lgkmcnt(0)
	s_and_b32 s0, s0, 0x3ff
	s_delay_alu instid0(SALU_CYCLE_1) | instskip(NEXT) | instid1(SALU_CYCLE_1)
	s_bitset1_b32 s0, 10
	s_mov_b32 m0, s0
	s_sendmsg sendmsg(MSG_INTERRUPT)
	s_mov_b32 m0, ttmp2
.LBB4_1625:                             ; =>This Inner Loop Header: Depth=1
	s_sethalt 5
	s_branch .LBB4_1625
.LBB4_1626:
	s_trap 2
	s_sendmsg_rtn_b32 s0, sendmsg(MSG_RTN_GET_DOORBELL)
	s_mov_b32 ttmp2, m0
	s_waitcnt lgkmcnt(0)
	s_and_b32 s0, s0, 0x3ff
	s_delay_alu instid0(SALU_CYCLE_1) | instskip(NEXT) | instid1(SALU_CYCLE_1)
	s_bitset1_b32 s0, 10
	s_mov_b32 m0, s0
	s_sendmsg sendmsg(MSG_INTERRUPT)
	s_mov_b32 m0, ttmp2
.LBB4_1627:                             ; =>This Inner Loop Header: Depth=1
	s_sethalt 5
	s_branch .LBB4_1627
.LBB4_1628:
	s_trap 2
	s_sendmsg_rtn_b32 s0, sendmsg(MSG_RTN_GET_DOORBELL)
	s_mov_b32 ttmp2, m0
	s_waitcnt lgkmcnt(0)
	s_and_b32 s0, s0, 0x3ff
	s_delay_alu instid0(SALU_CYCLE_1) | instskip(NEXT) | instid1(SALU_CYCLE_1)
	s_bitset1_b32 s0, 10
	s_mov_b32 m0, s0
	s_sendmsg sendmsg(MSG_INTERRUPT)
	s_mov_b32 m0, ttmp2
.LBB4_1629:                             ; =>This Inner Loop Header: Depth=1
	s_sethalt 5
	s_branch .LBB4_1629
.LBB4_1630:
	s_trap 2
	s_sendmsg_rtn_b32 s0, sendmsg(MSG_RTN_GET_DOORBELL)
	s_mov_b32 ttmp2, m0
	s_waitcnt lgkmcnt(0)
	s_and_b32 s0, s0, 0x3ff
	s_delay_alu instid0(SALU_CYCLE_1) | instskip(NEXT) | instid1(SALU_CYCLE_1)
	s_bitset1_b32 s0, 10
	s_mov_b32 m0, s0
	s_sendmsg sendmsg(MSG_INTERRUPT)
	s_mov_b32 m0, ttmp2
.LBB4_1631:                             ; =>This Inner Loop Header: Depth=1
	s_sethalt 5
	s_branch .LBB4_1631
.LBB4_1632:
	s_trap 2
	s_sendmsg_rtn_b32 s0, sendmsg(MSG_RTN_GET_DOORBELL)
	s_mov_b32 ttmp2, m0
	s_waitcnt lgkmcnt(0)
	s_and_b32 s0, s0, 0x3ff
	s_delay_alu instid0(SALU_CYCLE_1) | instskip(NEXT) | instid1(SALU_CYCLE_1)
	s_bitset1_b32 s0, 10
	s_mov_b32 m0, s0
	s_sendmsg sendmsg(MSG_INTERRUPT)
	s_mov_b32 m0, ttmp2
.LBB4_1633:                             ; =>This Inner Loop Header: Depth=1
	s_sethalt 5
	s_branch .LBB4_1633
.LBB4_1634:
	s_trap 2
	s_sendmsg_rtn_b32 s0, sendmsg(MSG_RTN_GET_DOORBELL)
	s_mov_b32 ttmp2, m0
	s_waitcnt lgkmcnt(0)
	s_and_b32 s0, s0, 0x3ff
	s_delay_alu instid0(SALU_CYCLE_1) | instskip(NEXT) | instid1(SALU_CYCLE_1)
	s_bitset1_b32 s0, 10
	s_mov_b32 m0, s0
	s_sendmsg sendmsg(MSG_INTERRUPT)
	s_mov_b32 m0, ttmp2
.LBB4_1635:                             ; =>This Inner Loop Header: Depth=1
	s_sethalt 5
	s_branch .LBB4_1635
.LBB4_1636:
	s_trap 2
	s_sendmsg_rtn_b32 s0, sendmsg(MSG_RTN_GET_DOORBELL)
	s_mov_b32 ttmp2, m0
	s_waitcnt lgkmcnt(0)
	s_and_b32 s0, s0, 0x3ff
	s_delay_alu instid0(SALU_CYCLE_1) | instskip(NEXT) | instid1(SALU_CYCLE_1)
	s_bitset1_b32 s0, 10
	s_mov_b32 m0, s0
	s_sendmsg sendmsg(MSG_INTERRUPT)
	s_mov_b32 m0, ttmp2
.LBB4_1637:                             ; =>This Inner Loop Header: Depth=1
	s_sethalt 5
	s_branch .LBB4_1637
.LBB4_1638:
	s_trap 2
	s_sendmsg_rtn_b32 s0, sendmsg(MSG_RTN_GET_DOORBELL)
	s_mov_b32 ttmp2, m0
	s_waitcnt lgkmcnt(0)
	s_and_b32 s0, s0, 0x3ff
	s_delay_alu instid0(SALU_CYCLE_1) | instskip(NEXT) | instid1(SALU_CYCLE_1)
	s_bitset1_b32 s0, 10
	s_mov_b32 m0, s0
	s_sendmsg sendmsg(MSG_INTERRUPT)
	s_mov_b32 m0, ttmp2
.LBB4_1639:                             ; =>This Inner Loop Header: Depth=1
	s_sethalt 5
	s_branch .LBB4_1639
.LBB4_1640:
	s_trap 2
	s_sendmsg_rtn_b32 s0, sendmsg(MSG_RTN_GET_DOORBELL)
	s_mov_b32 ttmp2, m0
	s_waitcnt lgkmcnt(0)
	s_and_b32 s0, s0, 0x3ff
	s_delay_alu instid0(SALU_CYCLE_1) | instskip(NEXT) | instid1(SALU_CYCLE_1)
	s_bitset1_b32 s0, 10
	s_mov_b32 m0, s0
	s_sendmsg sendmsg(MSG_INTERRUPT)
	s_mov_b32 m0, ttmp2
.LBB4_1641:                             ; =>This Inner Loop Header: Depth=1
	s_sethalt 5
	s_branch .LBB4_1641
.LBB4_1642:
	s_trap 2
	s_sendmsg_rtn_b32 s0, sendmsg(MSG_RTN_GET_DOORBELL)
	s_mov_b32 ttmp2, m0
	s_waitcnt lgkmcnt(0)
	s_and_b32 s0, s0, 0x3ff
	s_delay_alu instid0(SALU_CYCLE_1) | instskip(NEXT) | instid1(SALU_CYCLE_1)
	s_bitset1_b32 s0, 10
	s_mov_b32 m0, s0
	s_sendmsg sendmsg(MSG_INTERRUPT)
	s_mov_b32 m0, ttmp2
.LBB4_1643:                             ; =>This Inner Loop Header: Depth=1
	s_sethalt 5
	s_branch .LBB4_1643
.LBB4_1644:
	s_trap 2
	s_sendmsg_rtn_b32 s0, sendmsg(MSG_RTN_GET_DOORBELL)
	s_mov_b32 ttmp2, m0
	s_waitcnt lgkmcnt(0)
	s_and_b32 s0, s0, 0x3ff
	s_delay_alu instid0(SALU_CYCLE_1) | instskip(NEXT) | instid1(SALU_CYCLE_1)
	s_bitset1_b32 s0, 10
	s_mov_b32 m0, s0
	s_sendmsg sendmsg(MSG_INTERRUPT)
	s_mov_b32 m0, ttmp2
.LBB4_1645:                             ; =>This Inner Loop Header: Depth=1
	s_sethalt 5
	s_branch .LBB4_1645
.LBB4_1646:
	s_or_b32 exec_lo, exec_lo, s4
	s_and_saveexec_b32 s4, s5
	s_delay_alu instid0(SALU_CYCLE_1)
	s_xor_b32 s4, exec_lo, s4
	s_cbranch_execz .LBB4_1648
; %bb.1647:
	v_mov_b32_e32 v0, 1
	ds_store_b32 v0, v0
	s_cbranch_execnz .LBB4_1740
.LBB4_1648:
	s_or_b32 exec_lo, exec_lo, s3
	;;#ASMSTART
	s_wakeup
	;;#ASMEND
.LBB4_1649:
	s_or_b32 exec_lo, exec_lo, s2
.LBB4_1650:
	s_and_not1_saveexec_b32 s1, s1
	s_cbranch_execz .LBB4_1652
; %bb.1651:
	s_waitcnt lgkmcnt(0)
	s_waitcnt_vscnt null, 0x0
	buffer_gl1_inv
	buffer_gl0_inv
	s_barrier
.LBB4_1652:
	s_or_b32 exec_lo, exec_lo, s0
.LBB4_1653:
	s_and_not1_saveexec_b32 s21, s30
	s_cbranch_execz .LBB4_1655
; %bb.1654:
	s_getpc_b64 s[0:1]
	s_add_u32 s0, s0, __PRETTY_FUNCTION__._ZN10PrimitivesIh14FuncSumPostDivIhE12FanSymmetricILi1EELi0E11ProtoSimpleILi2ELi2ELi0ELi2ELi0ELi0EELi0ELb0ELi0ELi0ELi0EEC2EiiPKiS8_PKvPvmhhhP15ncclDevWorkCollP14ncclDevWorkP2pii@rel32@lo+4
	s_addc_u32 s1, s1, __PRETTY_FUNCTION__._ZN10PrimitivesIh14FuncSumPostDivIhE12FanSymmetricILi1EELi0E11ProtoSimpleILi2ELi2ELi0ELi2ELi0ELi0EELi0ELb0ELi0ELi0ELi0EEC2EiiPKiS8_PKvPvmhhhP15ncclDevWorkCollP14ncclDevWorkP2pii@rel32@hi+12
	s_delay_alu instid0(SALU_CYCLE_1) | instskip(SKIP_3) | instid1(SALU_CYCLE_1)
	v_dual_mov_b32 v0, s0 :: v_dual_mov_b32 v1, s1
	s_getpc_b64 s[2:3]
	s_add_u32 s2, s2, __assert_fail@rel32@lo+4
	s_addc_u32 s3, s3, __assert_fail@rel32@hi+12
	s_swappc_b64 s[30:31], s[2:3]
	; divergent unreachable
.LBB4_1655:
	s_or_b32 exec_lo, exec_lo, s21
	s_clause 0x1f
	scratch_load_b32 v158, off, s33
	scratch_load_b32 v157, off, s33 offset:4
	scratch_load_b32 v156, off, s33 offset:8
	;; [unrolled: 1-line block ×31, first 2 shown]
	s_clause 0x1e
	scratch_load_b32 v94, off, s33 offset:128
	scratch_load_b32 v93, off, s33 offset:132
	;; [unrolled: 1-line block ×31, first 2 shown]
	v_readlane_b32 s30, v159, 20
	v_readlane_b32 s31, v159, 21
	v_readlane_b32 s53, v159, 19
	v_readlane_b32 s52, v159, 18
	v_readlane_b32 s51, v159, 17
	v_readlane_b32 s50, v159, 16
	v_readlane_b32 s49, v159, 15
	v_readlane_b32 s48, v159, 14
	v_readlane_b32 s47, v159, 13
	v_readlane_b32 s46, v159, 12
	v_readlane_b32 s45, v159, 11
	v_readlane_b32 s44, v159, 10
	v_readlane_b32 s43, v159, 9
	v_readlane_b32 s42, v159, 8
	v_readlane_b32 s41, v159, 7
	v_readlane_b32 s40, v159, 6
	v_readlane_b32 s39, v159, 5
	v_readlane_b32 s38, v159, 4
	v_readlane_b32 s37, v159, 3
	v_readlane_b32 s36, v159, 2
	v_readlane_b32 s35, v159, 1
	v_readlane_b32 s34, v159, 0
	v_readlane_b32 s0, v159, 22
	s_or_saveexec_b32 s1, -1
	s_clause 0x1
	scratch_load_b32 v159, off, s33 offset:252
	scratch_load_b32 v168, off, s33 offset:256
	s_mov_b32 exec_lo, s1
	s_addk_i32 s32, 0xfef0
	s_mov_b32 s33, s0
	s_waitcnt vmcnt(0) lgkmcnt(0)
	s_setpc_b64 s[30:31]
.LBB4_1656:
	s_trap 2
	s_sendmsg_rtn_b32 s0, sendmsg(MSG_RTN_GET_DOORBELL)
	s_mov_b32 ttmp2, m0
	s_waitcnt lgkmcnt(0)
	s_and_b32 s0, s0, 0x3ff
	s_delay_alu instid0(SALU_CYCLE_1) | instskip(NEXT) | instid1(SALU_CYCLE_1)
	s_bitset1_b32 s0, 10
	s_mov_b32 m0, s0
	s_sendmsg sendmsg(MSG_INTERRUPT)
	s_mov_b32 m0, ttmp2
.LBB4_1657:                             ; =>This Inner Loop Header: Depth=1
	s_sethalt 5
	s_branch .LBB4_1657
.LBB4_1658:
	s_trap 2
	s_sendmsg_rtn_b32 s0, sendmsg(MSG_RTN_GET_DOORBELL)
	s_mov_b32 ttmp2, m0
	s_waitcnt lgkmcnt(0)
	s_and_b32 s0, s0, 0x3ff
	s_delay_alu instid0(SALU_CYCLE_1) | instskip(NEXT) | instid1(SALU_CYCLE_1)
	s_bitset1_b32 s0, 10
	s_mov_b32 m0, s0
	s_sendmsg sendmsg(MSG_INTERRUPT)
	s_mov_b32 m0, ttmp2
.LBB4_1659:                             ; =>This Inner Loop Header: Depth=1
	s_sethalt 5
	s_branch .LBB4_1659
.LBB4_1660:
	s_trap 2
	s_sendmsg_rtn_b32 s0, sendmsg(MSG_RTN_GET_DOORBELL)
	s_mov_b32 ttmp2, m0
	s_waitcnt lgkmcnt(0)
	s_and_b32 s0, s0, 0x3ff
	s_delay_alu instid0(SALU_CYCLE_1) | instskip(NEXT) | instid1(SALU_CYCLE_1)
	s_bitset1_b32 s0, 10
	s_mov_b32 m0, s0
	s_sendmsg sendmsg(MSG_INTERRUPT)
	s_mov_b32 m0, ttmp2
.LBB4_1661:                             ; =>This Inner Loop Header: Depth=1
	s_sethalt 5
	s_branch .LBB4_1661
.LBB4_1662:
	s_trap 2
	s_sendmsg_rtn_b32 s0, sendmsg(MSG_RTN_GET_DOORBELL)
	s_mov_b32 ttmp2, m0
	s_waitcnt lgkmcnt(0)
	s_and_b32 s0, s0, 0x3ff
	s_delay_alu instid0(SALU_CYCLE_1) | instskip(NEXT) | instid1(SALU_CYCLE_1)
	s_bitset1_b32 s0, 10
	s_mov_b32 m0, s0
	s_sendmsg sendmsg(MSG_INTERRUPT)
	s_mov_b32 m0, ttmp2
.LBB4_1663:                             ; =>This Inner Loop Header: Depth=1
	s_sethalt 5
	s_branch .LBB4_1663
.LBB4_1664:
	s_trap 2
	s_sendmsg_rtn_b32 s0, sendmsg(MSG_RTN_GET_DOORBELL)
	s_mov_b32 ttmp2, m0
	s_waitcnt lgkmcnt(0)
	s_and_b32 s0, s0, 0x3ff
	s_delay_alu instid0(SALU_CYCLE_1) | instskip(NEXT) | instid1(SALU_CYCLE_1)
	s_bitset1_b32 s0, 10
	s_mov_b32 m0, s0
	s_sendmsg sendmsg(MSG_INTERRUPT)
	s_mov_b32 m0, ttmp2
.LBB4_1665:                             ; =>This Inner Loop Header: Depth=1
	s_sethalt 5
	s_branch .LBB4_1665
.LBB4_1666:
	s_trap 2
	s_sendmsg_rtn_b32 s0, sendmsg(MSG_RTN_GET_DOORBELL)
	s_mov_b32 ttmp2, m0
	s_waitcnt lgkmcnt(0)
	s_and_b32 s0, s0, 0x3ff
	s_delay_alu instid0(SALU_CYCLE_1) | instskip(NEXT) | instid1(SALU_CYCLE_1)
	s_bitset1_b32 s0, 10
	s_mov_b32 m0, s0
	s_sendmsg sendmsg(MSG_INTERRUPT)
	s_mov_b32 m0, ttmp2
.LBB4_1667:                             ; =>This Inner Loop Header: Depth=1
	s_sethalt 5
	s_branch .LBB4_1667
.LBB4_1668:
	s_trap 2
	s_sendmsg_rtn_b32 s0, sendmsg(MSG_RTN_GET_DOORBELL)
	s_mov_b32 ttmp2, m0
	s_waitcnt lgkmcnt(0)
	s_and_b32 s0, s0, 0x3ff
	s_delay_alu instid0(SALU_CYCLE_1) | instskip(NEXT) | instid1(SALU_CYCLE_1)
	s_bitset1_b32 s0, 10
	s_mov_b32 m0, s0
	s_sendmsg sendmsg(MSG_INTERRUPT)
	s_mov_b32 m0, ttmp2
.LBB4_1669:                             ; =>This Inner Loop Header: Depth=1
	s_sethalt 5
	s_branch .LBB4_1669
.LBB4_1670:
	s_trap 2
	s_sendmsg_rtn_b32 s0, sendmsg(MSG_RTN_GET_DOORBELL)
	s_mov_b32 ttmp2, m0
	s_waitcnt lgkmcnt(0)
	s_and_b32 s0, s0, 0x3ff
	s_delay_alu instid0(SALU_CYCLE_1) | instskip(NEXT) | instid1(SALU_CYCLE_1)
	s_bitset1_b32 s0, 10
	s_mov_b32 m0, s0
	s_sendmsg sendmsg(MSG_INTERRUPT)
	s_mov_b32 m0, ttmp2
.LBB4_1671:                             ; =>This Inner Loop Header: Depth=1
	s_sethalt 5
	s_branch .LBB4_1671
.LBB4_1672:
	s_trap 2
	s_sendmsg_rtn_b32 s0, sendmsg(MSG_RTN_GET_DOORBELL)
	s_mov_b32 ttmp2, m0
	s_waitcnt lgkmcnt(0)
	s_and_b32 s0, s0, 0x3ff
	s_delay_alu instid0(SALU_CYCLE_1) | instskip(NEXT) | instid1(SALU_CYCLE_1)
	s_bitset1_b32 s0, 10
	s_mov_b32 m0, s0
	s_sendmsg sendmsg(MSG_INTERRUPT)
	s_mov_b32 m0, ttmp2
.LBB4_1673:                             ; =>This Inner Loop Header: Depth=1
	s_sethalt 5
	s_branch .LBB4_1673
.LBB4_1674:
	s_trap 2
	s_sendmsg_rtn_b32 s0, sendmsg(MSG_RTN_GET_DOORBELL)
	s_mov_b32 ttmp2, m0
	s_waitcnt lgkmcnt(0)
	s_and_b32 s0, s0, 0x3ff
	s_delay_alu instid0(SALU_CYCLE_1) | instskip(NEXT) | instid1(SALU_CYCLE_1)
	s_bitset1_b32 s0, 10
	s_mov_b32 m0, s0
	s_sendmsg sendmsg(MSG_INTERRUPT)
	s_mov_b32 m0, ttmp2
.LBB4_1675:                             ; =>This Inner Loop Header: Depth=1
	s_sethalt 5
	s_branch .LBB4_1675
.LBB4_1676:
	s_trap 2
	s_sendmsg_rtn_b32 s0, sendmsg(MSG_RTN_GET_DOORBELL)
	s_mov_b32 ttmp2, m0
	s_waitcnt lgkmcnt(0)
	s_and_b32 s0, s0, 0x3ff
	s_delay_alu instid0(SALU_CYCLE_1) | instskip(NEXT) | instid1(SALU_CYCLE_1)
	s_bitset1_b32 s0, 10
	s_mov_b32 m0, s0
	s_sendmsg sendmsg(MSG_INTERRUPT)
	s_mov_b32 m0, ttmp2
.LBB4_1677:                             ; =>This Inner Loop Header: Depth=1
	s_sethalt 5
	s_branch .LBB4_1677
.LBB4_1678:
	s_trap 2
	s_sendmsg_rtn_b32 s0, sendmsg(MSG_RTN_GET_DOORBELL)
	s_mov_b32 ttmp2, m0
	s_waitcnt lgkmcnt(0)
	s_and_b32 s0, s0, 0x3ff
	s_delay_alu instid0(SALU_CYCLE_1) | instskip(NEXT) | instid1(SALU_CYCLE_1)
	s_bitset1_b32 s0, 10
	s_mov_b32 m0, s0
	s_sendmsg sendmsg(MSG_INTERRUPT)
	s_mov_b32 m0, ttmp2
.LBB4_1679:                             ; =>This Inner Loop Header: Depth=1
	s_sethalt 5
	s_branch .LBB4_1679
.LBB4_1680:
	s_trap 2
	s_sendmsg_rtn_b32 s0, sendmsg(MSG_RTN_GET_DOORBELL)
	s_mov_b32 ttmp2, m0
	s_waitcnt lgkmcnt(0)
	s_and_b32 s0, s0, 0x3ff
	s_delay_alu instid0(SALU_CYCLE_1) | instskip(NEXT) | instid1(SALU_CYCLE_1)
	s_bitset1_b32 s0, 10
	s_mov_b32 m0, s0
	s_sendmsg sendmsg(MSG_INTERRUPT)
	s_mov_b32 m0, ttmp2
.LBB4_1681:                             ; =>This Inner Loop Header: Depth=1
	s_sethalt 5
	s_branch .LBB4_1681
.LBB4_1682:
	s_trap 2
	s_sendmsg_rtn_b32 s0, sendmsg(MSG_RTN_GET_DOORBELL)
	s_mov_b32 ttmp2, m0
	s_waitcnt lgkmcnt(0)
	s_and_b32 s0, s0, 0x3ff
	s_delay_alu instid0(SALU_CYCLE_1) | instskip(NEXT) | instid1(SALU_CYCLE_1)
	s_bitset1_b32 s0, 10
	s_mov_b32 m0, s0
	s_sendmsg sendmsg(MSG_INTERRUPT)
	s_mov_b32 m0, ttmp2
.LBB4_1683:                             ; =>This Inner Loop Header: Depth=1
	s_sethalt 5
	s_branch .LBB4_1683
.LBB4_1684:
	s_trap 2
	s_sendmsg_rtn_b32 s0, sendmsg(MSG_RTN_GET_DOORBELL)
	s_mov_b32 ttmp2, m0
	s_waitcnt lgkmcnt(0)
	s_and_b32 s0, s0, 0x3ff
	s_delay_alu instid0(SALU_CYCLE_1) | instskip(NEXT) | instid1(SALU_CYCLE_1)
	s_bitset1_b32 s0, 10
	s_mov_b32 m0, s0
	s_sendmsg sendmsg(MSG_INTERRUPT)
	s_mov_b32 m0, ttmp2
.LBB4_1685:                             ; =>This Inner Loop Header: Depth=1
	s_sethalt 5
	s_branch .LBB4_1685
.LBB4_1686:
	s_trap 2
	s_sendmsg_rtn_b32 s0, sendmsg(MSG_RTN_GET_DOORBELL)
	s_mov_b32 ttmp2, m0
	s_waitcnt lgkmcnt(0)
	s_and_b32 s0, s0, 0x3ff
	s_delay_alu instid0(SALU_CYCLE_1) | instskip(NEXT) | instid1(SALU_CYCLE_1)
	s_bitset1_b32 s0, 10
	s_mov_b32 m0, s0
	s_sendmsg sendmsg(MSG_INTERRUPT)
	s_mov_b32 m0, ttmp2
.LBB4_1687:                             ; =>This Inner Loop Header: Depth=1
	s_sethalt 5
	s_branch .LBB4_1687
.LBB4_1688:
	s_trap 2
	s_sendmsg_rtn_b32 s0, sendmsg(MSG_RTN_GET_DOORBELL)
	s_mov_b32 ttmp2, m0
	s_waitcnt lgkmcnt(0)
	s_and_b32 s0, s0, 0x3ff
	s_delay_alu instid0(SALU_CYCLE_1) | instskip(NEXT) | instid1(SALU_CYCLE_1)
	s_bitset1_b32 s0, 10
	s_mov_b32 m0, s0
	s_sendmsg sendmsg(MSG_INTERRUPT)
	s_mov_b32 m0, ttmp2
.LBB4_1689:                             ; =>This Inner Loop Header: Depth=1
	s_sethalt 5
	s_branch .LBB4_1689
.LBB4_1690:
	s_trap 2
	s_sendmsg_rtn_b32 s0, sendmsg(MSG_RTN_GET_DOORBELL)
	s_mov_b32 ttmp2, m0
	s_waitcnt lgkmcnt(0)
	s_and_b32 s0, s0, 0x3ff
	s_delay_alu instid0(SALU_CYCLE_1) | instskip(NEXT) | instid1(SALU_CYCLE_1)
	s_bitset1_b32 s0, 10
	s_mov_b32 m0, s0
	s_sendmsg sendmsg(MSG_INTERRUPT)
	s_mov_b32 m0, ttmp2
.LBB4_1691:                             ; =>This Inner Loop Header: Depth=1
	s_sethalt 5
	s_branch .LBB4_1691
.LBB4_1692:
	s_trap 2
	s_sendmsg_rtn_b32 s0, sendmsg(MSG_RTN_GET_DOORBELL)
	s_mov_b32 ttmp2, m0
	s_waitcnt lgkmcnt(0)
	s_and_b32 s0, s0, 0x3ff
	s_delay_alu instid0(SALU_CYCLE_1) | instskip(NEXT) | instid1(SALU_CYCLE_1)
	s_bitset1_b32 s0, 10
	s_mov_b32 m0, s0
	s_sendmsg sendmsg(MSG_INTERRUPT)
	s_mov_b32 m0, ttmp2
.LBB4_1693:                             ; =>This Inner Loop Header: Depth=1
	s_sethalt 5
	s_branch .LBB4_1693
.LBB4_1694:
	s_trap 2
	s_sendmsg_rtn_b32 s0, sendmsg(MSG_RTN_GET_DOORBELL)
	s_mov_b32 ttmp2, m0
	s_waitcnt lgkmcnt(0)
	s_and_b32 s0, s0, 0x3ff
	s_delay_alu instid0(SALU_CYCLE_1) | instskip(NEXT) | instid1(SALU_CYCLE_1)
	s_bitset1_b32 s0, 10
	s_mov_b32 m0, s0
	s_sendmsg sendmsg(MSG_INTERRUPT)
	s_mov_b32 m0, ttmp2
.LBB4_1695:                             ; =>This Inner Loop Header: Depth=1
	s_sethalt 5
	s_branch .LBB4_1695
.LBB4_1696:
	s_trap 2
	s_sendmsg_rtn_b32 s0, sendmsg(MSG_RTN_GET_DOORBELL)
	s_mov_b32 ttmp2, m0
	s_waitcnt lgkmcnt(0)
	s_and_b32 s0, s0, 0x3ff
	s_delay_alu instid0(SALU_CYCLE_1) | instskip(NEXT) | instid1(SALU_CYCLE_1)
	s_bitset1_b32 s0, 10
	s_mov_b32 m0, s0
	s_sendmsg sendmsg(MSG_INTERRUPT)
	s_mov_b32 m0, ttmp2
.LBB4_1697:                             ; =>This Inner Loop Header: Depth=1
	s_sethalt 5
	s_branch .LBB4_1697
.LBB4_1698:
	s_trap 2
	s_sendmsg_rtn_b32 s0, sendmsg(MSG_RTN_GET_DOORBELL)
	s_mov_b32 ttmp2, m0
	s_waitcnt lgkmcnt(0)
	s_and_b32 s0, s0, 0x3ff
	s_delay_alu instid0(SALU_CYCLE_1) | instskip(NEXT) | instid1(SALU_CYCLE_1)
	s_bitset1_b32 s0, 10
	s_mov_b32 m0, s0
	s_sendmsg sendmsg(MSG_INTERRUPT)
	s_mov_b32 m0, ttmp2
.LBB4_1699:                             ; =>This Inner Loop Header: Depth=1
	s_sethalt 5
	s_branch .LBB4_1699
.LBB4_1700:
	s_trap 2
	s_sendmsg_rtn_b32 s0, sendmsg(MSG_RTN_GET_DOORBELL)
	s_mov_b32 ttmp2, m0
	s_waitcnt lgkmcnt(0)
	s_and_b32 s0, s0, 0x3ff
	s_delay_alu instid0(SALU_CYCLE_1) | instskip(NEXT) | instid1(SALU_CYCLE_1)
	s_bitset1_b32 s0, 10
	s_mov_b32 m0, s0
	s_sendmsg sendmsg(MSG_INTERRUPT)
	s_mov_b32 m0, ttmp2
.LBB4_1701:                             ; =>This Inner Loop Header: Depth=1
	s_sethalt 5
	s_branch .LBB4_1701
.LBB4_1702:
	s_trap 2
	s_sendmsg_rtn_b32 s0, sendmsg(MSG_RTN_GET_DOORBELL)
	s_mov_b32 ttmp2, m0
	s_waitcnt lgkmcnt(0)
	s_and_b32 s0, s0, 0x3ff
	s_delay_alu instid0(SALU_CYCLE_1) | instskip(NEXT) | instid1(SALU_CYCLE_1)
	s_bitset1_b32 s0, 10
	s_mov_b32 m0, s0
	s_sendmsg sendmsg(MSG_INTERRUPT)
	s_mov_b32 m0, ttmp2
.LBB4_1703:                             ; =>This Inner Loop Header: Depth=1
	s_sethalt 5
	s_branch .LBB4_1703
.LBB4_1704:
	s_trap 2
	s_sendmsg_rtn_b32 s0, sendmsg(MSG_RTN_GET_DOORBELL)
	s_mov_b32 ttmp2, m0
	s_waitcnt lgkmcnt(0)
	s_and_b32 s0, s0, 0x3ff
	s_delay_alu instid0(SALU_CYCLE_1) | instskip(NEXT) | instid1(SALU_CYCLE_1)
	s_bitset1_b32 s0, 10
	s_mov_b32 m0, s0
	s_sendmsg sendmsg(MSG_INTERRUPT)
	s_mov_b32 m0, ttmp2
.LBB4_1705:                             ; =>This Inner Loop Header: Depth=1
	s_sethalt 5
	s_branch .LBB4_1705
.LBB4_1706:
	s_trap 2
	s_sendmsg_rtn_b32 s0, sendmsg(MSG_RTN_GET_DOORBELL)
	s_mov_b32 ttmp2, m0
	s_waitcnt lgkmcnt(0)
	s_and_b32 s0, s0, 0x3ff
	s_delay_alu instid0(SALU_CYCLE_1) | instskip(NEXT) | instid1(SALU_CYCLE_1)
	s_bitset1_b32 s0, 10
	s_mov_b32 m0, s0
	s_sendmsg sendmsg(MSG_INTERRUPT)
	s_mov_b32 m0, ttmp2
.LBB4_1707:                             ; =>This Inner Loop Header: Depth=1
	s_sethalt 5
	s_branch .LBB4_1707
.LBB4_1708:
	s_trap 2
	s_sendmsg_rtn_b32 s0, sendmsg(MSG_RTN_GET_DOORBELL)
	s_mov_b32 ttmp2, m0
	s_waitcnt lgkmcnt(0)
	s_and_b32 s0, s0, 0x3ff
	s_delay_alu instid0(SALU_CYCLE_1) | instskip(NEXT) | instid1(SALU_CYCLE_1)
	s_bitset1_b32 s0, 10
	s_mov_b32 m0, s0
	s_sendmsg sendmsg(MSG_INTERRUPT)
	s_mov_b32 m0, ttmp2
.LBB4_1709:                             ; =>This Inner Loop Header: Depth=1
	s_sethalt 5
	s_branch .LBB4_1709
.LBB4_1710:
	s_trap 2
	s_sendmsg_rtn_b32 s0, sendmsg(MSG_RTN_GET_DOORBELL)
	s_mov_b32 ttmp2, m0
	s_waitcnt lgkmcnt(0)
	s_and_b32 s0, s0, 0x3ff
	s_delay_alu instid0(SALU_CYCLE_1) | instskip(NEXT) | instid1(SALU_CYCLE_1)
	s_bitset1_b32 s0, 10
	s_mov_b32 m0, s0
	s_sendmsg sendmsg(MSG_INTERRUPT)
	s_mov_b32 m0, ttmp2
.LBB4_1711:                             ; =>This Inner Loop Header: Depth=1
	s_sethalt 5
	s_branch .LBB4_1711
.LBB4_1712:
	s_trap 2
	s_sendmsg_rtn_b32 s0, sendmsg(MSG_RTN_GET_DOORBELL)
	s_mov_b32 ttmp2, m0
	s_waitcnt lgkmcnt(0)
	s_and_b32 s0, s0, 0x3ff
	s_delay_alu instid0(SALU_CYCLE_1) | instskip(NEXT) | instid1(SALU_CYCLE_1)
	s_bitset1_b32 s0, 10
	s_mov_b32 m0, s0
	s_sendmsg sendmsg(MSG_INTERRUPT)
	s_mov_b32 m0, ttmp2
.LBB4_1713:                             ; =>This Inner Loop Header: Depth=1
	s_sethalt 5
	s_branch .LBB4_1713
.LBB4_1714:
	s_trap 2
	s_sendmsg_rtn_b32 s0, sendmsg(MSG_RTN_GET_DOORBELL)
	s_mov_b32 ttmp2, m0
	s_waitcnt lgkmcnt(0)
	s_and_b32 s0, s0, 0x3ff
	s_delay_alu instid0(SALU_CYCLE_1) | instskip(NEXT) | instid1(SALU_CYCLE_1)
	s_bitset1_b32 s0, 10
	s_mov_b32 m0, s0
	s_sendmsg sendmsg(MSG_INTERRUPT)
	s_mov_b32 m0, ttmp2
.LBB4_1715:                             ; =>This Inner Loop Header: Depth=1
	s_sethalt 5
	s_branch .LBB4_1715
.LBB4_1716:
	s_trap 2
	s_sendmsg_rtn_b32 s0, sendmsg(MSG_RTN_GET_DOORBELL)
	s_mov_b32 ttmp2, m0
	s_waitcnt lgkmcnt(0)
	s_and_b32 s0, s0, 0x3ff
	s_delay_alu instid0(SALU_CYCLE_1) | instskip(NEXT) | instid1(SALU_CYCLE_1)
	s_bitset1_b32 s0, 10
	s_mov_b32 m0, s0
	s_sendmsg sendmsg(MSG_INTERRUPT)
	s_mov_b32 m0, ttmp2
.LBB4_1717:                             ; =>This Inner Loop Header: Depth=1
	s_sethalt 5
	s_branch .LBB4_1717
.LBB4_1718:
	s_trap 2
	s_sendmsg_rtn_b32 s0, sendmsg(MSG_RTN_GET_DOORBELL)
	s_mov_b32 ttmp2, m0
	s_waitcnt lgkmcnt(0)
	s_and_b32 s0, s0, 0x3ff
	s_delay_alu instid0(SALU_CYCLE_1) | instskip(NEXT) | instid1(SALU_CYCLE_1)
	s_bitset1_b32 s0, 10
	s_mov_b32 m0, s0
	s_sendmsg sendmsg(MSG_INTERRUPT)
	s_mov_b32 m0, ttmp2
.LBB4_1719:                             ; =>This Inner Loop Header: Depth=1
	s_sethalt 5
	s_branch .LBB4_1719
.LBB4_1720:
	s_trap 2
	s_sendmsg_rtn_b32 s0, sendmsg(MSG_RTN_GET_DOORBELL)
	s_mov_b32 ttmp2, m0
	s_waitcnt lgkmcnt(0)
	s_and_b32 s0, s0, 0x3ff
	s_delay_alu instid0(SALU_CYCLE_1) | instskip(NEXT) | instid1(SALU_CYCLE_1)
	s_bitset1_b32 s0, 10
	s_mov_b32 m0, s0
	s_sendmsg sendmsg(MSG_INTERRUPT)
	s_mov_b32 m0, ttmp2
.LBB4_1721:                             ; =>This Inner Loop Header: Depth=1
	s_sethalt 5
	s_branch .LBB4_1721
.LBB4_1722:
	s_trap 2
	s_sendmsg_rtn_b32 s0, sendmsg(MSG_RTN_GET_DOORBELL)
	s_mov_b32 ttmp2, m0
	s_waitcnt lgkmcnt(0)
	s_and_b32 s0, s0, 0x3ff
	s_delay_alu instid0(SALU_CYCLE_1) | instskip(NEXT) | instid1(SALU_CYCLE_1)
	s_bitset1_b32 s0, 10
	s_mov_b32 m0, s0
	s_sendmsg sendmsg(MSG_INTERRUPT)
	s_mov_b32 m0, ttmp2
.LBB4_1723:                             ; =>This Inner Loop Header: Depth=1
	s_sethalt 5
	s_branch .LBB4_1723
.LBB4_1724:
	s_trap 2
	s_sendmsg_rtn_b32 s0, sendmsg(MSG_RTN_GET_DOORBELL)
	s_mov_b32 ttmp2, m0
	s_waitcnt lgkmcnt(0)
	s_and_b32 s0, s0, 0x3ff
	s_delay_alu instid0(SALU_CYCLE_1) | instskip(NEXT) | instid1(SALU_CYCLE_1)
	s_bitset1_b32 s0, 10
	s_mov_b32 m0, s0
	s_sendmsg sendmsg(MSG_INTERRUPT)
	s_mov_b32 m0, ttmp2
.LBB4_1725:                             ; =>This Inner Loop Header: Depth=1
	s_sethalt 5
	s_branch .LBB4_1725
.LBB4_1726:
	s_trap 2
	s_sendmsg_rtn_b32 s0, sendmsg(MSG_RTN_GET_DOORBELL)
	s_mov_b32 ttmp2, m0
	s_waitcnt lgkmcnt(0)
	s_and_b32 s0, s0, 0x3ff
	s_delay_alu instid0(SALU_CYCLE_1) | instskip(NEXT) | instid1(SALU_CYCLE_1)
	s_bitset1_b32 s0, 10
	s_mov_b32 m0, s0
	s_sendmsg sendmsg(MSG_INTERRUPT)
	s_mov_b32 m0, ttmp2
.LBB4_1727:                             ; =>This Inner Loop Header: Depth=1
	s_sethalt 5
	s_branch .LBB4_1727
.LBB4_1728:
	s_trap 2
	s_sendmsg_rtn_b32 s0, sendmsg(MSG_RTN_GET_DOORBELL)
	s_mov_b32 ttmp2, m0
	s_waitcnt lgkmcnt(0)
	s_and_b32 s0, s0, 0x3ff
	s_delay_alu instid0(SALU_CYCLE_1) | instskip(NEXT) | instid1(SALU_CYCLE_1)
	s_bitset1_b32 s0, 10
	s_mov_b32 m0, s0
	s_sendmsg sendmsg(MSG_INTERRUPT)
	s_mov_b32 m0, ttmp2
.LBB4_1729:                             ; =>This Inner Loop Header: Depth=1
	s_sethalt 5
	s_branch .LBB4_1729
.LBB4_1730:
	s_trap 2
	s_sendmsg_rtn_b32 s0, sendmsg(MSG_RTN_GET_DOORBELL)
	s_mov_b32 ttmp2, m0
	s_waitcnt lgkmcnt(0)
	s_and_b32 s0, s0, 0x3ff
	s_delay_alu instid0(SALU_CYCLE_1) | instskip(NEXT) | instid1(SALU_CYCLE_1)
	s_bitset1_b32 s0, 10
	s_mov_b32 m0, s0
	s_sendmsg sendmsg(MSG_INTERRUPT)
	s_mov_b32 m0, ttmp2
.LBB4_1731:                             ; =>This Inner Loop Header: Depth=1
	s_sethalt 5
	s_branch .LBB4_1731
.LBB4_1732:
	s_trap 2
	s_sendmsg_rtn_b32 s0, sendmsg(MSG_RTN_GET_DOORBELL)
	s_mov_b32 ttmp2, m0
	s_waitcnt lgkmcnt(0)
	s_and_b32 s0, s0, 0x3ff
	s_delay_alu instid0(SALU_CYCLE_1) | instskip(NEXT) | instid1(SALU_CYCLE_1)
	s_bitset1_b32 s0, 10
	s_mov_b32 m0, s0
	s_sendmsg sendmsg(MSG_INTERRUPT)
	s_mov_b32 m0, ttmp2
.LBB4_1733:                             ; =>This Inner Loop Header: Depth=1
	s_sethalt 5
	s_branch .LBB4_1733
.LBB4_1734:
	s_trap 2
	s_sendmsg_rtn_b32 s0, sendmsg(MSG_RTN_GET_DOORBELL)
	s_mov_b32 ttmp2, m0
	s_waitcnt lgkmcnt(0)
	s_and_b32 s0, s0, 0x3ff
	s_delay_alu instid0(SALU_CYCLE_1) | instskip(NEXT) | instid1(SALU_CYCLE_1)
	s_bitset1_b32 s0, 10
	s_mov_b32 m0, s0
	s_sendmsg sendmsg(MSG_INTERRUPT)
	s_mov_b32 m0, ttmp2
.LBB4_1735:                             ; =>This Inner Loop Header: Depth=1
	s_sethalt 5
	s_branch .LBB4_1735
.LBB4_1736:
	s_trap 2
	s_sendmsg_rtn_b32 s0, sendmsg(MSG_RTN_GET_DOORBELL)
	s_mov_b32 ttmp2, m0
	s_waitcnt lgkmcnt(0)
	s_and_b32 s0, s0, 0x3ff
	s_delay_alu instid0(SALU_CYCLE_1) | instskip(NEXT) | instid1(SALU_CYCLE_1)
	s_bitset1_b32 s0, 10
	s_mov_b32 m0, s0
	s_sendmsg sendmsg(MSG_INTERRUPT)
	s_mov_b32 m0, ttmp2
.LBB4_1737:                             ; =>This Inner Loop Header: Depth=1
	s_sethalt 5
	s_branch .LBB4_1737
.LBB4_1738:
	s_trap 2
	s_sendmsg_rtn_b32 s0, sendmsg(MSG_RTN_GET_DOORBELL)
	s_mov_b32 ttmp2, m0
	s_waitcnt lgkmcnt(0)
	s_and_b32 s0, s0, 0x3ff
	s_delay_alu instid0(SALU_CYCLE_1) | instskip(NEXT) | instid1(SALU_CYCLE_1)
	s_bitset1_b32 s0, 10
	s_mov_b32 m0, s0
	s_sendmsg sendmsg(MSG_INTERRUPT)
	s_mov_b32 m0, ttmp2
.LBB4_1739:                             ; =>This Inner Loop Header: Depth=1
	s_sethalt 5
	s_branch .LBB4_1739
.LBB4_1740:
	s_trap 2
	s_sendmsg_rtn_b32 s0, sendmsg(MSG_RTN_GET_DOORBELL)
	s_mov_b32 ttmp2, m0
	s_waitcnt lgkmcnt(0)
	s_and_b32 s0, s0, 0x3ff
	s_delay_alu instid0(SALU_CYCLE_1) | instskip(NEXT) | instid1(SALU_CYCLE_1)
	s_bitset1_b32 s0, 10
	s_mov_b32 m0, s0
	s_sendmsg sendmsg(MSG_INTERRUPT)
	s_mov_b32 m0, ttmp2
.LBB4_1741:                             ; =>This Inner Loop Header: Depth=1
	s_sethalt 5
	s_branch .LBB4_1741
.LBB4_1742:
	s_trap 2
	s_sendmsg_rtn_b32 s0, sendmsg(MSG_RTN_GET_DOORBELL)
	s_mov_b32 ttmp2, m0
	s_waitcnt lgkmcnt(0)
	s_and_b32 s0, s0, 0x3ff
	s_delay_alu instid0(SALU_CYCLE_1) | instskip(NEXT) | instid1(SALU_CYCLE_1)
	s_bitset1_b32 s0, 10
	s_mov_b32 m0, s0
	s_sendmsg sendmsg(MSG_INTERRUPT)
	s_mov_b32 m0, ttmp2
.LBB4_1743:                             ; =>This Inner Loop Header: Depth=1
	s_sethalt 5
	s_branch .LBB4_1743
.LBB4_1744:
	s_trap 2
	s_sendmsg_rtn_b32 s0, sendmsg(MSG_RTN_GET_DOORBELL)
	s_mov_b32 ttmp2, m0
	s_waitcnt lgkmcnt(0)
	s_and_b32 s0, s0, 0x3ff
	s_delay_alu instid0(SALU_CYCLE_1) | instskip(NEXT) | instid1(SALU_CYCLE_1)
	s_bitset1_b32 s0, 10
	s_mov_b32 m0, s0
	s_sendmsg sendmsg(MSG_INTERRUPT)
	s_mov_b32 m0, ttmp2
.LBB4_1745:                             ; =>This Inner Loop Header: Depth=1
	s_sethalt 5
	s_branch .LBB4_1745
.LBB4_1746:
	s_trap 2
	s_sendmsg_rtn_b32 s0, sendmsg(MSG_RTN_GET_DOORBELL)
	s_mov_b32 ttmp2, m0
	s_waitcnt lgkmcnt(0)
	s_and_b32 s0, s0, 0x3ff
	s_delay_alu instid0(SALU_CYCLE_1) | instskip(NEXT) | instid1(SALU_CYCLE_1)
	s_bitset1_b32 s0, 10
	s_mov_b32 m0, s0
	s_sendmsg sendmsg(MSG_INTERRUPT)
	s_mov_b32 m0, ttmp2
.LBB4_1747:                             ; =>This Inner Loop Header: Depth=1
	s_sethalt 5
	s_branch .LBB4_1747
.LBB4_1748:
	s_trap 2
	s_sendmsg_rtn_b32 s0, sendmsg(MSG_RTN_GET_DOORBELL)
	s_mov_b32 ttmp2, m0
	s_waitcnt lgkmcnt(0)
	s_and_b32 s0, s0, 0x3ff
	s_delay_alu instid0(SALU_CYCLE_1) | instskip(NEXT) | instid1(SALU_CYCLE_1)
	s_bitset1_b32 s0, 10
	s_mov_b32 m0, s0
	s_sendmsg sendmsg(MSG_INTERRUPT)
	s_mov_b32 m0, ttmp2
.LBB4_1749:                             ; =>This Inner Loop Header: Depth=1
	s_sethalt 5
	s_branch .LBB4_1749
.LBB4_1750:
	s_trap 2
	s_sendmsg_rtn_b32 s0, sendmsg(MSG_RTN_GET_DOORBELL)
	s_mov_b32 ttmp2, m0
	s_waitcnt lgkmcnt(0)
	s_and_b32 s0, s0, 0x3ff
	s_delay_alu instid0(SALU_CYCLE_1) | instskip(NEXT) | instid1(SALU_CYCLE_1)
	s_bitset1_b32 s0, 10
	s_mov_b32 m0, s0
	s_sendmsg sendmsg(MSG_INTERRUPT)
	s_mov_b32 m0, ttmp2
.LBB4_1751:                             ; =>This Inner Loop Header: Depth=1
	s_sethalt 5
	s_branch .LBB4_1751
.LBB4_1752:
	s_trap 2
	s_sendmsg_rtn_b32 s0, sendmsg(MSG_RTN_GET_DOORBELL)
	s_mov_b32 ttmp2, m0
	s_waitcnt lgkmcnt(0)
	s_and_b32 s0, s0, 0x3ff
	s_delay_alu instid0(SALU_CYCLE_1) | instskip(NEXT) | instid1(SALU_CYCLE_1)
	s_bitset1_b32 s0, 10
	s_mov_b32 m0, s0
	s_sendmsg sendmsg(MSG_INTERRUPT)
	s_mov_b32 m0, ttmp2
.LBB4_1753:                             ; =>This Inner Loop Header: Depth=1
	s_sethalt 5
	s_branch .LBB4_1753
.LBB4_1754:
	s_trap 2
	s_sendmsg_rtn_b32 s0, sendmsg(MSG_RTN_GET_DOORBELL)
	s_mov_b32 ttmp2, m0
	s_waitcnt lgkmcnt(0)
	s_and_b32 s0, s0, 0x3ff
	s_delay_alu instid0(SALU_CYCLE_1) | instskip(NEXT) | instid1(SALU_CYCLE_1)
	s_bitset1_b32 s0, 10
	s_mov_b32 m0, s0
	s_sendmsg sendmsg(MSG_INTERRUPT)
	s_mov_b32 m0, ttmp2
.LBB4_1755:                             ; =>This Inner Loop Header: Depth=1
	s_sethalt 5
	s_branch .LBB4_1755
.LBB4_1756:
	s_trap 2
	s_sendmsg_rtn_b32 s0, sendmsg(MSG_RTN_GET_DOORBELL)
	s_mov_b32 ttmp2, m0
	s_waitcnt lgkmcnt(0)
	s_and_b32 s0, s0, 0x3ff
	s_delay_alu instid0(SALU_CYCLE_1) | instskip(NEXT) | instid1(SALU_CYCLE_1)
	s_bitset1_b32 s0, 10
	s_mov_b32 m0, s0
	s_sendmsg sendmsg(MSG_INTERRUPT)
	s_mov_b32 m0, ttmp2
.LBB4_1757:                             ; =>This Inner Loop Header: Depth=1
	s_sethalt 5
	s_branch .LBB4_1757
.LBB4_1758:
	s_trap 2
	s_sendmsg_rtn_b32 s0, sendmsg(MSG_RTN_GET_DOORBELL)
	s_mov_b32 ttmp2, m0
	s_waitcnt lgkmcnt(0)
	s_and_b32 s0, s0, 0x3ff
	s_delay_alu instid0(SALU_CYCLE_1) | instskip(NEXT) | instid1(SALU_CYCLE_1)
	s_bitset1_b32 s0, 10
	s_mov_b32 m0, s0
	s_sendmsg sendmsg(MSG_INTERRUPT)
	s_mov_b32 m0, ttmp2
.LBB4_1759:                             ; =>This Inner Loop Header: Depth=1
	s_sethalt 5
	s_branch .LBB4_1759
.LBB4_1760:
	s_trap 2
	s_sendmsg_rtn_b32 s0, sendmsg(MSG_RTN_GET_DOORBELL)
	s_mov_b32 ttmp2, m0
	s_waitcnt lgkmcnt(0)
	s_and_b32 s0, s0, 0x3ff
	s_delay_alu instid0(SALU_CYCLE_1) | instskip(NEXT) | instid1(SALU_CYCLE_1)
	s_bitset1_b32 s0, 10
	s_mov_b32 m0, s0
	s_sendmsg sendmsg(MSG_INTERRUPT)
	s_mov_b32 m0, ttmp2
.LBB4_1761:                             ; =>This Inner Loop Header: Depth=1
	s_sethalt 5
	s_branch .LBB4_1761
.LBB4_1762:
	s_trap 2
	s_sendmsg_rtn_b32 s0, sendmsg(MSG_RTN_GET_DOORBELL)
	s_mov_b32 ttmp2, m0
	s_waitcnt lgkmcnt(0)
	s_and_b32 s0, s0, 0x3ff
	s_delay_alu instid0(SALU_CYCLE_1) | instskip(NEXT) | instid1(SALU_CYCLE_1)
	s_bitset1_b32 s0, 10
	s_mov_b32 m0, s0
	s_sendmsg sendmsg(MSG_INTERRUPT)
	s_mov_b32 m0, ttmp2
.LBB4_1763:                             ; =>This Inner Loop Header: Depth=1
	s_sethalt 5
	s_branch .LBB4_1763
.LBB4_1764:
	s_trap 2
	s_sendmsg_rtn_b32 s0, sendmsg(MSG_RTN_GET_DOORBELL)
	s_mov_b32 ttmp2, m0
	s_waitcnt lgkmcnt(0)
	s_and_b32 s0, s0, 0x3ff
	s_delay_alu instid0(SALU_CYCLE_1) | instskip(NEXT) | instid1(SALU_CYCLE_1)
	s_bitset1_b32 s0, 10
	s_mov_b32 m0, s0
	s_sendmsg sendmsg(MSG_INTERRUPT)
	s_mov_b32 m0, ttmp2
.LBB4_1765:                             ; =>This Inner Loop Header: Depth=1
	s_sethalt 5
	s_branch .LBB4_1765
.LBB4_1766:
	s_trap 2
	s_sendmsg_rtn_b32 s0, sendmsg(MSG_RTN_GET_DOORBELL)
	s_mov_b32 ttmp2, m0
	s_waitcnt lgkmcnt(0)
	s_and_b32 s0, s0, 0x3ff
	s_delay_alu instid0(SALU_CYCLE_1) | instskip(NEXT) | instid1(SALU_CYCLE_1)
	s_bitset1_b32 s0, 10
	s_mov_b32 m0, s0
	s_sendmsg sendmsg(MSG_INTERRUPT)
	s_mov_b32 m0, ttmp2
.LBB4_1767:                             ; =>This Inner Loop Header: Depth=1
	s_sethalt 5
	s_branch .LBB4_1767
.LBB4_1768:
	s_trap 2
	s_sendmsg_rtn_b32 s0, sendmsg(MSG_RTN_GET_DOORBELL)
	s_mov_b32 ttmp2, m0
	s_waitcnt lgkmcnt(0)
	s_and_b32 s0, s0, 0x3ff
	s_delay_alu instid0(SALU_CYCLE_1) | instskip(NEXT) | instid1(SALU_CYCLE_1)
	s_bitset1_b32 s0, 10
	s_mov_b32 m0, s0
	s_sendmsg sendmsg(MSG_INTERRUPT)
	s_mov_b32 m0, ttmp2
.LBB4_1769:                             ; =>This Inner Loop Header: Depth=1
	s_sethalt 5
	s_branch .LBB4_1769
.LBB4_1770:
	s_trap 2
	s_sendmsg_rtn_b32 s0, sendmsg(MSG_RTN_GET_DOORBELL)
	s_mov_b32 ttmp2, m0
	s_waitcnt lgkmcnt(0)
	s_and_b32 s0, s0, 0x3ff
	s_delay_alu instid0(SALU_CYCLE_1) | instskip(NEXT) | instid1(SALU_CYCLE_1)
	s_bitset1_b32 s0, 10
	s_mov_b32 m0, s0
	s_sendmsg sendmsg(MSG_INTERRUPT)
	s_mov_b32 m0, ttmp2
.LBB4_1771:                             ; =>This Inner Loop Header: Depth=1
	s_sethalt 5
	s_branch .LBB4_1771
.LBB4_1772:
	s_trap 2
	s_sendmsg_rtn_b32 s0, sendmsg(MSG_RTN_GET_DOORBELL)
	s_mov_b32 ttmp2, m0
	s_waitcnt lgkmcnt(0)
	s_and_b32 s0, s0, 0x3ff
	s_delay_alu instid0(SALU_CYCLE_1) | instskip(NEXT) | instid1(SALU_CYCLE_1)
	s_bitset1_b32 s0, 10
	s_mov_b32 m0, s0
	s_sendmsg sendmsg(MSG_INTERRUPT)
	s_mov_b32 m0, ttmp2
.LBB4_1773:                             ; =>This Inner Loop Header: Depth=1
	s_sethalt 5
	s_branch .LBB4_1773
.LBB4_1774:
	s_trap 2
	s_sendmsg_rtn_b32 s0, sendmsg(MSG_RTN_GET_DOORBELL)
	s_mov_b32 ttmp2, m0
	s_waitcnt lgkmcnt(0)
	s_and_b32 s0, s0, 0x3ff
	s_delay_alu instid0(SALU_CYCLE_1) | instskip(NEXT) | instid1(SALU_CYCLE_1)
	s_bitset1_b32 s0, 10
	s_mov_b32 m0, s0
	s_sendmsg sendmsg(MSG_INTERRUPT)
	s_mov_b32 m0, ttmp2
.LBB4_1775:                             ; =>This Inner Loop Header: Depth=1
	s_sethalt 5
	s_branch .LBB4_1775
.LBB4_1776:
	s_trap 2
	s_sendmsg_rtn_b32 s0, sendmsg(MSG_RTN_GET_DOORBELL)
	s_mov_b32 ttmp2, m0
	s_waitcnt lgkmcnt(0)
	s_and_b32 s0, s0, 0x3ff
	s_delay_alu instid0(SALU_CYCLE_1) | instskip(NEXT) | instid1(SALU_CYCLE_1)
	s_bitset1_b32 s0, 10
	s_mov_b32 m0, s0
	s_sendmsg sendmsg(MSG_INTERRUPT)
	s_mov_b32 m0, ttmp2
.LBB4_1777:                             ; =>This Inner Loop Header: Depth=1
	s_sethalt 5
	s_branch .LBB4_1777
.LBB4_1778:
	s_trap 2
	s_sendmsg_rtn_b32 s0, sendmsg(MSG_RTN_GET_DOORBELL)
	s_mov_b32 ttmp2, m0
	s_waitcnt lgkmcnt(0)
	s_and_b32 s0, s0, 0x3ff
	s_delay_alu instid0(SALU_CYCLE_1) | instskip(NEXT) | instid1(SALU_CYCLE_1)
	s_bitset1_b32 s0, 10
	s_mov_b32 m0, s0
	s_sendmsg sendmsg(MSG_INTERRUPT)
	s_mov_b32 m0, ttmp2
.LBB4_1779:                             ; =>This Inner Loop Header: Depth=1
	s_sethalt 5
	s_branch .LBB4_1779
.LBB4_1780:
	s_trap 2
	s_sendmsg_rtn_b32 s0, sendmsg(MSG_RTN_GET_DOORBELL)
	s_mov_b32 ttmp2, m0
	s_waitcnt lgkmcnt(0)
	s_and_b32 s0, s0, 0x3ff
	s_delay_alu instid0(SALU_CYCLE_1) | instskip(NEXT) | instid1(SALU_CYCLE_1)
	s_bitset1_b32 s0, 10
	s_mov_b32 m0, s0
	s_sendmsg sendmsg(MSG_INTERRUPT)
	s_mov_b32 m0, ttmp2
.LBB4_1781:                             ; =>This Inner Loop Header: Depth=1
	s_sethalt 5
	s_branch .LBB4_1781
.LBB4_1782:
	s_trap 2
	s_sendmsg_rtn_b32 s0, sendmsg(MSG_RTN_GET_DOORBELL)
	s_mov_b32 ttmp2, m0
	s_waitcnt lgkmcnt(0)
	s_and_b32 s0, s0, 0x3ff
	s_delay_alu instid0(SALU_CYCLE_1) | instskip(NEXT) | instid1(SALU_CYCLE_1)
	s_bitset1_b32 s0, 10
	s_mov_b32 m0, s0
	s_sendmsg sendmsg(MSG_INTERRUPT)
	s_mov_b32 m0, ttmp2
.LBB4_1783:                             ; =>This Inner Loop Header: Depth=1
	s_sethalt 5
	s_branch .LBB4_1783
.LBB4_1784:
	s_trap 2
	s_sendmsg_rtn_b32 s0, sendmsg(MSG_RTN_GET_DOORBELL)
	s_mov_b32 ttmp2, m0
	s_waitcnt lgkmcnt(0)
	s_and_b32 s0, s0, 0x3ff
	s_delay_alu instid0(SALU_CYCLE_1) | instskip(NEXT) | instid1(SALU_CYCLE_1)
	s_bitset1_b32 s0, 10
	s_mov_b32 m0, s0
	s_sendmsg sendmsg(MSG_INTERRUPT)
	s_mov_b32 m0, ttmp2
.LBB4_1785:                             ; =>This Inner Loop Header: Depth=1
	s_sethalt 5
	s_branch .LBB4_1785
.LBB4_1786:
	s_trap 2
	s_sendmsg_rtn_b32 s0, sendmsg(MSG_RTN_GET_DOORBELL)
	s_mov_b32 ttmp2, m0
	s_waitcnt lgkmcnt(0)
	s_and_b32 s0, s0, 0x3ff
	s_delay_alu instid0(SALU_CYCLE_1) | instskip(NEXT) | instid1(SALU_CYCLE_1)
	s_bitset1_b32 s0, 10
	s_mov_b32 m0, s0
	s_sendmsg sendmsg(MSG_INTERRUPT)
	s_mov_b32 m0, ttmp2
.LBB4_1787:                             ; =>This Inner Loop Header: Depth=1
	s_sethalt 5
	s_branch .LBB4_1787
.LBB4_1788:
	s_trap 2
	s_sendmsg_rtn_b32 s0, sendmsg(MSG_RTN_GET_DOORBELL)
	s_mov_b32 ttmp2, m0
	s_waitcnt lgkmcnt(0)
	s_and_b32 s0, s0, 0x3ff
	s_delay_alu instid0(SALU_CYCLE_1) | instskip(NEXT) | instid1(SALU_CYCLE_1)
	s_bitset1_b32 s0, 10
	s_mov_b32 m0, s0
	s_sendmsg sendmsg(MSG_INTERRUPT)
	s_mov_b32 m0, ttmp2
.LBB4_1789:                             ; =>This Inner Loop Header: Depth=1
	s_sethalt 5
	s_branch .LBB4_1789
.LBB4_1790:
	s_trap 2
	s_sendmsg_rtn_b32 s0, sendmsg(MSG_RTN_GET_DOORBELL)
	s_mov_b32 ttmp2, m0
	s_waitcnt lgkmcnt(0)
	s_and_b32 s0, s0, 0x3ff
	s_delay_alu instid0(SALU_CYCLE_1) | instskip(NEXT) | instid1(SALU_CYCLE_1)
	s_bitset1_b32 s0, 10
	s_mov_b32 m0, s0
	s_sendmsg sendmsg(MSG_INTERRUPT)
	s_mov_b32 m0, ttmp2
.LBB4_1791:                             ; =>This Inner Loop Header: Depth=1
	s_sethalt 5
	s_branch .LBB4_1791
.LBB4_1792:
	s_trap 2
	s_sendmsg_rtn_b32 s0, sendmsg(MSG_RTN_GET_DOORBELL)
	s_mov_b32 ttmp2, m0
	s_waitcnt lgkmcnt(0)
	s_and_b32 s0, s0, 0x3ff
	s_delay_alu instid0(SALU_CYCLE_1) | instskip(NEXT) | instid1(SALU_CYCLE_1)
	s_bitset1_b32 s0, 10
	s_mov_b32 m0, s0
	s_sendmsg sendmsg(MSG_INTERRUPT)
	s_mov_b32 m0, ttmp2
.LBB4_1793:                             ; =>This Inner Loop Header: Depth=1
	s_sethalt 5
	s_branch .LBB4_1793
.LBB4_1794:
	s_trap 2
	s_sendmsg_rtn_b32 s0, sendmsg(MSG_RTN_GET_DOORBELL)
	s_mov_b32 ttmp2, m0
	s_waitcnt lgkmcnt(0)
	s_and_b32 s0, s0, 0x3ff
	s_delay_alu instid0(SALU_CYCLE_1) | instskip(NEXT) | instid1(SALU_CYCLE_1)
	s_bitset1_b32 s0, 10
	s_mov_b32 m0, s0
	s_sendmsg sendmsg(MSG_INTERRUPT)
	s_mov_b32 m0, ttmp2
.LBB4_1795:                             ; =>This Inner Loop Header: Depth=1
	s_sethalt 5
	s_branch .LBB4_1795
.LBB4_1796:
	s_trap 2
	s_sendmsg_rtn_b32 s0, sendmsg(MSG_RTN_GET_DOORBELL)
	s_mov_b32 ttmp2, m0
	s_waitcnt lgkmcnt(0)
	s_and_b32 s0, s0, 0x3ff
	s_delay_alu instid0(SALU_CYCLE_1) | instskip(NEXT) | instid1(SALU_CYCLE_1)
	s_bitset1_b32 s0, 10
	s_mov_b32 m0, s0
	s_sendmsg sendmsg(MSG_INTERRUPT)
	s_mov_b32 m0, ttmp2
.LBB4_1797:                             ; =>This Inner Loop Header: Depth=1
	s_sethalt 5
	s_branch .LBB4_1797
.LBB4_1798:
	s_trap 2
	s_sendmsg_rtn_b32 s0, sendmsg(MSG_RTN_GET_DOORBELL)
	s_mov_b32 ttmp2, m0
	s_waitcnt lgkmcnt(0)
	s_and_b32 s0, s0, 0x3ff
	s_delay_alu instid0(SALU_CYCLE_1) | instskip(NEXT) | instid1(SALU_CYCLE_1)
	s_bitset1_b32 s0, 10
	s_mov_b32 m0, s0
	s_sendmsg sendmsg(MSG_INTERRUPT)
	s_mov_b32 m0, ttmp2
.LBB4_1799:                             ; =>This Inner Loop Header: Depth=1
	s_sethalt 5
	s_branch .LBB4_1799
.LBB4_1800:
	s_trap 2
	s_sendmsg_rtn_b32 s0, sendmsg(MSG_RTN_GET_DOORBELL)
	s_mov_b32 ttmp2, m0
	s_waitcnt lgkmcnt(0)
	s_and_b32 s0, s0, 0x3ff
	s_delay_alu instid0(SALU_CYCLE_1) | instskip(NEXT) | instid1(SALU_CYCLE_1)
	s_bitset1_b32 s0, 10
	s_mov_b32 m0, s0
	s_sendmsg sendmsg(MSG_INTERRUPT)
	s_mov_b32 m0, ttmp2
.LBB4_1801:                             ; =>This Inner Loop Header: Depth=1
	s_sethalt 5
	s_branch .LBB4_1801
.LBB4_1802:
	s_trap 2
	s_sendmsg_rtn_b32 s0, sendmsg(MSG_RTN_GET_DOORBELL)
	s_mov_b32 ttmp2, m0
	s_waitcnt lgkmcnt(0)
	s_and_b32 s0, s0, 0x3ff
	s_delay_alu instid0(SALU_CYCLE_1) | instskip(NEXT) | instid1(SALU_CYCLE_1)
	s_bitset1_b32 s0, 10
	s_mov_b32 m0, s0
	s_sendmsg sendmsg(MSG_INTERRUPT)
	s_mov_b32 m0, ttmp2
.LBB4_1803:                             ; =>This Inner Loop Header: Depth=1
	s_sethalt 5
	s_branch .LBB4_1803
.LBB4_1804:
	s_trap 2
	s_sendmsg_rtn_b32 s0, sendmsg(MSG_RTN_GET_DOORBELL)
	s_mov_b32 ttmp2, m0
	s_waitcnt lgkmcnt(0)
	s_and_b32 s0, s0, 0x3ff
	s_delay_alu instid0(SALU_CYCLE_1) | instskip(NEXT) | instid1(SALU_CYCLE_1)
	s_bitset1_b32 s0, 10
	s_mov_b32 m0, s0
	s_sendmsg sendmsg(MSG_INTERRUPT)
	s_mov_b32 m0, ttmp2
.LBB4_1805:                             ; =>This Inner Loop Header: Depth=1
	s_sethalt 5
	s_branch .LBB4_1805
.LBB4_1806:
	s_trap 2
	s_sendmsg_rtn_b32 s0, sendmsg(MSG_RTN_GET_DOORBELL)
	s_mov_b32 ttmp2, m0
	s_waitcnt lgkmcnt(0)
	s_and_b32 s0, s0, 0x3ff
	s_delay_alu instid0(SALU_CYCLE_1) | instskip(NEXT) | instid1(SALU_CYCLE_1)
	s_bitset1_b32 s0, 10
	s_mov_b32 m0, s0
	s_sendmsg sendmsg(MSG_INTERRUPT)
	s_mov_b32 m0, ttmp2
.LBB4_1807:                             ; =>This Inner Loop Header: Depth=1
	s_sethalt 5
	s_branch .LBB4_1807
.LBB4_1808:
	s_trap 2
	s_sendmsg_rtn_b32 s0, sendmsg(MSG_RTN_GET_DOORBELL)
	s_mov_b32 ttmp2, m0
	s_waitcnt lgkmcnt(0)
	s_and_b32 s0, s0, 0x3ff
	s_delay_alu instid0(SALU_CYCLE_1) | instskip(NEXT) | instid1(SALU_CYCLE_1)
	s_bitset1_b32 s0, 10
	s_mov_b32 m0, s0
	s_sendmsg sendmsg(MSG_INTERRUPT)
	s_mov_b32 m0, ttmp2
.LBB4_1809:                             ; =>This Inner Loop Header: Depth=1
	s_sethalt 5
	s_branch .LBB4_1809
.LBB4_1810:
	s_trap 2
	s_sendmsg_rtn_b32 s0, sendmsg(MSG_RTN_GET_DOORBELL)
	s_mov_b32 ttmp2, m0
	s_waitcnt lgkmcnt(0)
	s_and_b32 s0, s0, 0x3ff
	s_delay_alu instid0(SALU_CYCLE_1) | instskip(NEXT) | instid1(SALU_CYCLE_1)
	s_bitset1_b32 s0, 10
	s_mov_b32 m0, s0
	s_sendmsg sendmsg(MSG_INTERRUPT)
	s_mov_b32 m0, ttmp2
.LBB4_1811:                             ; =>This Inner Loop Header: Depth=1
	s_sethalt 5
	s_branch .LBB4_1811
.LBB4_1812:
	s_trap 2
	s_sendmsg_rtn_b32 s0, sendmsg(MSG_RTN_GET_DOORBELL)
	s_mov_b32 ttmp2, m0
	s_waitcnt lgkmcnt(0)
	s_and_b32 s0, s0, 0x3ff
	s_delay_alu instid0(SALU_CYCLE_1) | instskip(NEXT) | instid1(SALU_CYCLE_1)
	s_bitset1_b32 s0, 10
	s_mov_b32 m0, s0
	s_sendmsg sendmsg(MSG_INTERRUPT)
	s_mov_b32 m0, ttmp2
.LBB4_1813:                             ; =>This Inner Loop Header: Depth=1
	s_sethalt 5
	s_branch .LBB4_1813
.LBB4_1814:
	s_trap 2
	s_sendmsg_rtn_b32 s0, sendmsg(MSG_RTN_GET_DOORBELL)
	s_mov_b32 ttmp2, m0
	s_waitcnt lgkmcnt(0)
	s_and_b32 s0, s0, 0x3ff
	s_delay_alu instid0(SALU_CYCLE_1) | instskip(NEXT) | instid1(SALU_CYCLE_1)
	s_bitset1_b32 s0, 10
	s_mov_b32 m0, s0
	s_sendmsg sendmsg(MSG_INTERRUPT)
	s_mov_b32 m0, ttmp2
.LBB4_1815:                             ; =>This Inner Loop Header: Depth=1
	s_sethalt 5
	s_branch .LBB4_1815
.LBB4_1816:
	s_trap 2
	s_sendmsg_rtn_b32 s0, sendmsg(MSG_RTN_GET_DOORBELL)
	s_mov_b32 ttmp2, m0
	s_waitcnt lgkmcnt(0)
	s_and_b32 s0, s0, 0x3ff
	s_delay_alu instid0(SALU_CYCLE_1) | instskip(NEXT) | instid1(SALU_CYCLE_1)
	s_bitset1_b32 s0, 10
	s_mov_b32 m0, s0
	s_sendmsg sendmsg(MSG_INTERRUPT)
	s_mov_b32 m0, ttmp2
.LBB4_1817:                             ; =>This Inner Loop Header: Depth=1
	s_sethalt 5
	s_branch .LBB4_1817
.LBB4_1818:
	s_trap 2
	s_sendmsg_rtn_b32 s0, sendmsg(MSG_RTN_GET_DOORBELL)
	s_mov_b32 ttmp2, m0
	s_waitcnt lgkmcnt(0)
	s_and_b32 s0, s0, 0x3ff
	s_delay_alu instid0(SALU_CYCLE_1) | instskip(NEXT) | instid1(SALU_CYCLE_1)
	s_bitset1_b32 s0, 10
	s_mov_b32 m0, s0
	s_sendmsg sendmsg(MSG_INTERRUPT)
	s_mov_b32 m0, ttmp2
.LBB4_1819:                             ; =>This Inner Loop Header: Depth=1
	s_sethalt 5
	s_branch .LBB4_1819
.LBB4_1820:
	s_trap 2
	s_sendmsg_rtn_b32 s0, sendmsg(MSG_RTN_GET_DOORBELL)
	s_mov_b32 ttmp2, m0
	s_waitcnt lgkmcnt(0)
	s_and_b32 s0, s0, 0x3ff
	s_delay_alu instid0(SALU_CYCLE_1) | instskip(NEXT) | instid1(SALU_CYCLE_1)
	s_bitset1_b32 s0, 10
	s_mov_b32 m0, s0
	s_sendmsg sendmsg(MSG_INTERRUPT)
	s_mov_b32 m0, ttmp2
.LBB4_1821:                             ; =>This Inner Loop Header: Depth=1
	s_sethalt 5
	s_branch .LBB4_1821
.LBB4_1822:
	s_trap 2
	s_sendmsg_rtn_b32 s0, sendmsg(MSG_RTN_GET_DOORBELL)
	s_mov_b32 ttmp2, m0
	s_waitcnt lgkmcnt(0)
	s_and_b32 s0, s0, 0x3ff
	s_delay_alu instid0(SALU_CYCLE_1) | instskip(NEXT) | instid1(SALU_CYCLE_1)
	s_bitset1_b32 s0, 10
	s_mov_b32 m0, s0
	s_sendmsg sendmsg(MSG_INTERRUPT)
	s_mov_b32 m0, ttmp2
.LBB4_1823:                             ; =>This Inner Loop Header: Depth=1
	s_sethalt 5
	s_branch .LBB4_1823
.LBB4_1824:
	s_trap 2
	s_sendmsg_rtn_b32 s0, sendmsg(MSG_RTN_GET_DOORBELL)
	s_mov_b32 ttmp2, m0
	s_waitcnt lgkmcnt(0)
	s_and_b32 s0, s0, 0x3ff
	s_delay_alu instid0(SALU_CYCLE_1) | instskip(NEXT) | instid1(SALU_CYCLE_1)
	s_bitset1_b32 s0, 10
	s_mov_b32 m0, s0
	s_sendmsg sendmsg(MSG_INTERRUPT)
	s_mov_b32 m0, ttmp2
.LBB4_1825:                             ; =>This Inner Loop Header: Depth=1
	s_sethalt 5
	s_branch .LBB4_1825
.LBB4_1826:
	s_trap 2
	s_sendmsg_rtn_b32 s0, sendmsg(MSG_RTN_GET_DOORBELL)
	s_mov_b32 ttmp2, m0
	s_waitcnt lgkmcnt(0)
	s_and_b32 s0, s0, 0x3ff
	s_delay_alu instid0(SALU_CYCLE_1) | instskip(NEXT) | instid1(SALU_CYCLE_1)
	s_bitset1_b32 s0, 10
	s_mov_b32 m0, s0
	s_sendmsg sendmsg(MSG_INTERRUPT)
	s_mov_b32 m0, ttmp2
.LBB4_1827:                             ; =>This Inner Loop Header: Depth=1
	s_sethalt 5
	s_branch .LBB4_1827
.LBB4_1828:
	s_trap 2
	s_sendmsg_rtn_b32 s0, sendmsg(MSG_RTN_GET_DOORBELL)
	s_mov_b32 ttmp2, m0
	s_waitcnt lgkmcnt(0)
	s_and_b32 s0, s0, 0x3ff
	s_delay_alu instid0(SALU_CYCLE_1) | instskip(NEXT) | instid1(SALU_CYCLE_1)
	s_bitset1_b32 s0, 10
	s_mov_b32 m0, s0
	s_sendmsg sendmsg(MSG_INTERRUPT)
	s_mov_b32 m0, ttmp2
.LBB4_1829:                             ; =>This Inner Loop Header: Depth=1
	s_sethalt 5
	s_branch .LBB4_1829
.LBB4_1830:
	s_trap 2
	s_sendmsg_rtn_b32 s0, sendmsg(MSG_RTN_GET_DOORBELL)
	s_mov_b32 ttmp2, m0
	s_waitcnt lgkmcnt(0)
	s_and_b32 s0, s0, 0x3ff
	s_delay_alu instid0(SALU_CYCLE_1) | instskip(NEXT) | instid1(SALU_CYCLE_1)
	s_bitset1_b32 s0, 10
	s_mov_b32 m0, s0
	s_sendmsg sendmsg(MSG_INTERRUPT)
	s_mov_b32 m0, ttmp2
.LBB4_1831:                             ; =>This Inner Loop Header: Depth=1
	s_sethalt 5
	s_branch .LBB4_1831
.LBB4_1832:
	s_trap 2
	s_sendmsg_rtn_b32 s0, sendmsg(MSG_RTN_GET_DOORBELL)
	s_mov_b32 ttmp2, m0
	s_waitcnt lgkmcnt(0)
	s_and_b32 s0, s0, 0x3ff
	s_delay_alu instid0(SALU_CYCLE_1) | instskip(NEXT) | instid1(SALU_CYCLE_1)
	s_bitset1_b32 s0, 10
	s_mov_b32 m0, s0
	s_sendmsg sendmsg(MSG_INTERRUPT)
	s_mov_b32 m0, ttmp2
.LBB4_1833:                             ; =>This Inner Loop Header: Depth=1
	s_sethalt 5
	s_branch .LBB4_1833
.LBB4_1834:
	s_trap 2
	s_sendmsg_rtn_b32 s0, sendmsg(MSG_RTN_GET_DOORBELL)
	s_mov_b32 ttmp2, m0
	s_waitcnt lgkmcnt(0)
	s_and_b32 s0, s0, 0x3ff
	s_delay_alu instid0(SALU_CYCLE_1) | instskip(NEXT) | instid1(SALU_CYCLE_1)
	s_bitset1_b32 s0, 10
	s_mov_b32 m0, s0
	s_sendmsg sendmsg(MSG_INTERRUPT)
	s_mov_b32 m0, ttmp2
.LBB4_1835:                             ; =>This Inner Loop Header: Depth=1
	s_sethalt 5
	s_branch .LBB4_1835
.LBB4_1836:
	s_trap 2
	s_sendmsg_rtn_b32 s0, sendmsg(MSG_RTN_GET_DOORBELL)
	s_mov_b32 ttmp2, m0
	s_waitcnt lgkmcnt(0)
	s_and_b32 s0, s0, 0x3ff
	s_delay_alu instid0(SALU_CYCLE_1) | instskip(NEXT) | instid1(SALU_CYCLE_1)
	s_bitset1_b32 s0, 10
	s_mov_b32 m0, s0
	s_sendmsg sendmsg(MSG_INTERRUPT)
	s_mov_b32 m0, ttmp2
.LBB4_1837:                             ; =>This Inner Loop Header: Depth=1
	s_sethalt 5
	s_branch .LBB4_1837
.LBB4_1838:
	s_trap 2
	s_sendmsg_rtn_b32 s0, sendmsg(MSG_RTN_GET_DOORBELL)
	s_mov_b32 ttmp2, m0
	s_waitcnt lgkmcnt(0)
	s_and_b32 s0, s0, 0x3ff
	s_delay_alu instid0(SALU_CYCLE_1) | instskip(NEXT) | instid1(SALU_CYCLE_1)
	s_bitset1_b32 s0, 10
	s_mov_b32 m0, s0
	s_sendmsg sendmsg(MSG_INTERRUPT)
	s_mov_b32 m0, ttmp2
.LBB4_1839:                             ; =>This Inner Loop Header: Depth=1
	s_sethalt 5
	s_branch .LBB4_1839
.LBB4_1840:
	s_trap 2
	s_sendmsg_rtn_b32 s0, sendmsg(MSG_RTN_GET_DOORBELL)
	s_mov_b32 ttmp2, m0
	s_waitcnt lgkmcnt(0)
	s_and_b32 s0, s0, 0x3ff
	s_delay_alu instid0(SALU_CYCLE_1) | instskip(NEXT) | instid1(SALU_CYCLE_1)
	s_bitset1_b32 s0, 10
	s_mov_b32 m0, s0
	s_sendmsg sendmsg(MSG_INTERRUPT)
	s_mov_b32 m0, ttmp2
.LBB4_1841:                             ; =>This Inner Loop Header: Depth=1
	s_sethalt 5
	s_branch .LBB4_1841
.LBB4_1842:
	s_trap 2
	s_sendmsg_rtn_b32 s0, sendmsg(MSG_RTN_GET_DOORBELL)
	s_mov_b32 ttmp2, m0
	s_waitcnt lgkmcnt(0)
	s_and_b32 s0, s0, 0x3ff
	s_delay_alu instid0(SALU_CYCLE_1) | instskip(NEXT) | instid1(SALU_CYCLE_1)
	s_bitset1_b32 s0, 10
	s_mov_b32 m0, s0
	s_sendmsg sendmsg(MSG_INTERRUPT)
	s_mov_b32 m0, ttmp2
.LBB4_1843:                             ; =>This Inner Loop Header: Depth=1
	s_sethalt 5
	s_branch .LBB4_1843
.LBB4_1844:
	s_trap 2
	s_sendmsg_rtn_b32 s0, sendmsg(MSG_RTN_GET_DOORBELL)
	s_mov_b32 ttmp2, m0
	s_waitcnt lgkmcnt(0)
	s_and_b32 s0, s0, 0x3ff
	s_delay_alu instid0(SALU_CYCLE_1) | instskip(NEXT) | instid1(SALU_CYCLE_1)
	s_bitset1_b32 s0, 10
	s_mov_b32 m0, s0
	s_sendmsg sendmsg(MSG_INTERRUPT)
	s_mov_b32 m0, ttmp2
.LBB4_1845:                             ; =>This Inner Loop Header: Depth=1
	s_sethalt 5
	s_branch .LBB4_1845
.LBB4_1846:
	s_trap 2
	s_sendmsg_rtn_b32 s0, sendmsg(MSG_RTN_GET_DOORBELL)
	s_mov_b32 ttmp2, m0
	s_waitcnt lgkmcnt(0)
	s_and_b32 s0, s0, 0x3ff
	s_delay_alu instid0(SALU_CYCLE_1) | instskip(NEXT) | instid1(SALU_CYCLE_1)
	s_bitset1_b32 s0, 10
	s_mov_b32 m0, s0
	s_sendmsg sendmsg(MSG_INTERRUPT)
	s_mov_b32 m0, ttmp2
.LBB4_1847:                             ; =>This Inner Loop Header: Depth=1
	s_sethalt 5
	s_branch .LBB4_1847
.LBB4_1848:
	s_trap 2
	s_sendmsg_rtn_b32 s0, sendmsg(MSG_RTN_GET_DOORBELL)
	s_mov_b32 ttmp2, m0
	s_waitcnt lgkmcnt(0)
	s_and_b32 s0, s0, 0x3ff
	s_delay_alu instid0(SALU_CYCLE_1) | instskip(NEXT) | instid1(SALU_CYCLE_1)
	s_bitset1_b32 s0, 10
	s_mov_b32 m0, s0
	s_sendmsg sendmsg(MSG_INTERRUPT)
	s_mov_b32 m0, ttmp2
.LBB4_1849:                             ; =>This Inner Loop Header: Depth=1
	s_sethalt 5
	s_branch .LBB4_1849
.LBB4_1850:
	s_trap 2
	s_sendmsg_rtn_b32 s0, sendmsg(MSG_RTN_GET_DOORBELL)
	s_mov_b32 ttmp2, m0
	s_waitcnt lgkmcnt(0)
	s_and_b32 s0, s0, 0x3ff
	s_delay_alu instid0(SALU_CYCLE_1) | instskip(NEXT) | instid1(SALU_CYCLE_1)
	s_bitset1_b32 s0, 10
	s_mov_b32 m0, s0
	s_sendmsg sendmsg(MSG_INTERRUPT)
	s_mov_b32 m0, ttmp2
.LBB4_1851:                             ; =>This Inner Loop Header: Depth=1
	s_sethalt 5
	s_branch .LBB4_1851
.LBB4_1852:
	s_trap 2
	s_sendmsg_rtn_b32 s0, sendmsg(MSG_RTN_GET_DOORBELL)
	s_mov_b32 ttmp2, m0
	s_waitcnt lgkmcnt(0)
	s_and_b32 s0, s0, 0x3ff
	s_delay_alu instid0(SALU_CYCLE_1) | instskip(NEXT) | instid1(SALU_CYCLE_1)
	s_bitset1_b32 s0, 10
	s_mov_b32 m0, s0
	s_sendmsg sendmsg(MSG_INTERRUPT)
	s_mov_b32 m0, ttmp2
.LBB4_1853:                             ; =>This Inner Loop Header: Depth=1
	s_sethalt 5
	s_branch .LBB4_1853
.LBB4_1854:
	s_trap 2
	s_sendmsg_rtn_b32 s0, sendmsg(MSG_RTN_GET_DOORBELL)
	s_mov_b32 ttmp2, m0
	s_waitcnt lgkmcnt(0)
	s_and_b32 s0, s0, 0x3ff
	s_delay_alu instid0(SALU_CYCLE_1) | instskip(NEXT) | instid1(SALU_CYCLE_1)
	s_bitset1_b32 s0, 10
	s_mov_b32 m0, s0
	s_sendmsg sendmsg(MSG_INTERRUPT)
	s_mov_b32 m0, ttmp2
.LBB4_1855:                             ; =>This Inner Loop Header: Depth=1
	s_sethalt 5
	s_branch .LBB4_1855
.LBB4_1856:
	s_trap 2
	s_sendmsg_rtn_b32 s0, sendmsg(MSG_RTN_GET_DOORBELL)
	s_mov_b32 ttmp2, m0
	s_waitcnt lgkmcnt(0)
	s_and_b32 s0, s0, 0x3ff
	s_delay_alu instid0(SALU_CYCLE_1) | instskip(NEXT) | instid1(SALU_CYCLE_1)
	s_bitset1_b32 s0, 10
	s_mov_b32 m0, s0
	s_sendmsg sendmsg(MSG_INTERRUPT)
	s_mov_b32 m0, ttmp2
.LBB4_1857:                             ; =>This Inner Loop Header: Depth=1
	s_sethalt 5
	s_branch .LBB4_1857
.LBB4_1858:
	s_trap 2
	s_sendmsg_rtn_b32 s0, sendmsg(MSG_RTN_GET_DOORBELL)
	s_mov_b32 ttmp2, m0
	s_waitcnt lgkmcnt(0)
	s_and_b32 s0, s0, 0x3ff
	s_delay_alu instid0(SALU_CYCLE_1) | instskip(NEXT) | instid1(SALU_CYCLE_1)
	s_bitset1_b32 s0, 10
	s_mov_b32 m0, s0
	s_sendmsg sendmsg(MSG_INTERRUPT)
	s_mov_b32 m0, ttmp2
.LBB4_1859:                             ; =>This Inner Loop Header: Depth=1
	s_sethalt 5
	s_branch .LBB4_1859
.LBB4_1860:
	s_trap 2
	s_sendmsg_rtn_b32 s0, sendmsg(MSG_RTN_GET_DOORBELL)
	s_mov_b32 ttmp2, m0
	s_waitcnt lgkmcnt(0)
	s_and_b32 s0, s0, 0x3ff
	s_delay_alu instid0(SALU_CYCLE_1) | instskip(NEXT) | instid1(SALU_CYCLE_1)
	s_bitset1_b32 s0, 10
	s_mov_b32 m0, s0
	s_sendmsg sendmsg(MSG_INTERRUPT)
	s_mov_b32 m0, ttmp2
.LBB4_1861:                             ; =>This Inner Loop Header: Depth=1
	s_sethalt 5
	s_branch .LBB4_1861
.LBB4_1862:
	s_trap 2
	s_sendmsg_rtn_b32 s0, sendmsg(MSG_RTN_GET_DOORBELL)
	s_mov_b32 ttmp2, m0
	s_waitcnt lgkmcnt(0)
	s_and_b32 s0, s0, 0x3ff
	s_delay_alu instid0(SALU_CYCLE_1) | instskip(NEXT) | instid1(SALU_CYCLE_1)
	s_bitset1_b32 s0, 10
	s_mov_b32 m0, s0
	s_sendmsg sendmsg(MSG_INTERRUPT)
	s_mov_b32 m0, ttmp2
.LBB4_1863:                             ; =>This Inner Loop Header: Depth=1
	s_sethalt 5
	s_branch .LBB4_1863
.LBB4_1864:
	s_trap 2
	s_sendmsg_rtn_b32 s0, sendmsg(MSG_RTN_GET_DOORBELL)
	s_mov_b32 ttmp2, m0
	s_waitcnt lgkmcnt(0)
	s_and_b32 s0, s0, 0x3ff
	s_delay_alu instid0(SALU_CYCLE_1) | instskip(NEXT) | instid1(SALU_CYCLE_1)
	s_bitset1_b32 s0, 10
	s_mov_b32 m0, s0
	s_sendmsg sendmsg(MSG_INTERRUPT)
	s_mov_b32 m0, ttmp2
.LBB4_1865:                             ; =>This Inner Loop Header: Depth=1
	s_sethalt 5
	s_branch .LBB4_1865
.LBB4_1866:
	s_trap 2
	s_sendmsg_rtn_b32 s0, sendmsg(MSG_RTN_GET_DOORBELL)
	s_mov_b32 ttmp2, m0
	s_waitcnt lgkmcnt(0)
	s_and_b32 s0, s0, 0x3ff
	s_delay_alu instid0(SALU_CYCLE_1) | instskip(NEXT) | instid1(SALU_CYCLE_1)
	s_bitset1_b32 s0, 10
	s_mov_b32 m0, s0
	s_sendmsg sendmsg(MSG_INTERRUPT)
	s_mov_b32 m0, ttmp2
.LBB4_1867:                             ; =>This Inner Loop Header: Depth=1
	s_sethalt 5
	s_branch .LBB4_1867
.LBB4_1868:
	s_trap 2
	s_sendmsg_rtn_b32 s0, sendmsg(MSG_RTN_GET_DOORBELL)
	s_mov_b32 ttmp2, m0
	s_waitcnt lgkmcnt(0)
	s_and_b32 s0, s0, 0x3ff
	s_delay_alu instid0(SALU_CYCLE_1) | instskip(NEXT) | instid1(SALU_CYCLE_1)
	s_bitset1_b32 s0, 10
	s_mov_b32 m0, s0
	s_sendmsg sendmsg(MSG_INTERRUPT)
	s_mov_b32 m0, ttmp2
.LBB4_1869:                             ; =>This Inner Loop Header: Depth=1
	s_sethalt 5
	s_branch .LBB4_1869
.LBB4_1870:
	s_trap 2
	s_sendmsg_rtn_b32 s0, sendmsg(MSG_RTN_GET_DOORBELL)
	s_mov_b32 ttmp2, m0
	s_waitcnt lgkmcnt(0)
	s_and_b32 s0, s0, 0x3ff
	s_delay_alu instid0(SALU_CYCLE_1) | instskip(NEXT) | instid1(SALU_CYCLE_1)
	s_bitset1_b32 s0, 10
	s_mov_b32 m0, s0
	s_sendmsg sendmsg(MSG_INTERRUPT)
	s_mov_b32 m0, ttmp2
.LBB4_1871:                             ; =>This Inner Loop Header: Depth=1
	s_sethalt 5
	s_branch .LBB4_1871
.LBB4_1872:
	s_trap 2
	s_sendmsg_rtn_b32 s0, sendmsg(MSG_RTN_GET_DOORBELL)
	s_mov_b32 ttmp2, m0
	s_waitcnt lgkmcnt(0)
	s_and_b32 s0, s0, 0x3ff
	s_delay_alu instid0(SALU_CYCLE_1) | instskip(NEXT) | instid1(SALU_CYCLE_1)
	s_bitset1_b32 s0, 10
	s_mov_b32 m0, s0
	s_sendmsg sendmsg(MSG_INTERRUPT)
	s_mov_b32 m0, ttmp2
.LBB4_1873:                             ; =>This Inner Loop Header: Depth=1
	s_sethalt 5
	s_branch .LBB4_1873
.LBB4_1874:
	s_trap 2
	s_sendmsg_rtn_b32 s0, sendmsg(MSG_RTN_GET_DOORBELL)
	s_mov_b32 ttmp2, m0
	s_waitcnt lgkmcnt(0)
	s_and_b32 s0, s0, 0x3ff
	s_delay_alu instid0(SALU_CYCLE_1) | instskip(NEXT) | instid1(SALU_CYCLE_1)
	s_bitset1_b32 s0, 10
	s_mov_b32 m0, s0
	s_sendmsg sendmsg(MSG_INTERRUPT)
	s_mov_b32 m0, ttmp2
.LBB4_1875:                             ; =>This Inner Loop Header: Depth=1
	s_sethalt 5
	s_branch .LBB4_1875
.LBB4_1876:
	s_trap 2
	s_sendmsg_rtn_b32 s0, sendmsg(MSG_RTN_GET_DOORBELL)
	s_mov_b32 ttmp2, m0
	s_waitcnt lgkmcnt(0)
	s_and_b32 s0, s0, 0x3ff
	s_delay_alu instid0(SALU_CYCLE_1) | instskip(NEXT) | instid1(SALU_CYCLE_1)
	s_bitset1_b32 s0, 10
	s_mov_b32 m0, s0
	s_sendmsg sendmsg(MSG_INTERRUPT)
	s_mov_b32 m0, ttmp2
.LBB4_1877:                             ; =>This Inner Loop Header: Depth=1
	s_sethalt 5
	s_branch .LBB4_1877
.LBB4_1878:
	s_trap 2
	s_sendmsg_rtn_b32 s0, sendmsg(MSG_RTN_GET_DOORBELL)
	s_mov_b32 ttmp2, m0
	s_waitcnt lgkmcnt(0)
	s_and_b32 s0, s0, 0x3ff
	s_delay_alu instid0(SALU_CYCLE_1) | instskip(NEXT) | instid1(SALU_CYCLE_1)
	s_bitset1_b32 s0, 10
	s_mov_b32 m0, s0
	s_sendmsg sendmsg(MSG_INTERRUPT)
	s_mov_b32 m0, ttmp2
.LBB4_1879:                             ; =>This Inner Loop Header: Depth=1
	s_sethalt 5
	s_branch .LBB4_1879
.LBB4_1880:
	s_trap 2
	s_sendmsg_rtn_b32 s0, sendmsg(MSG_RTN_GET_DOORBELL)
	s_mov_b32 ttmp2, m0
	s_waitcnt lgkmcnt(0)
	s_and_b32 s0, s0, 0x3ff
	s_delay_alu instid0(SALU_CYCLE_1) | instskip(NEXT) | instid1(SALU_CYCLE_1)
	s_bitset1_b32 s0, 10
	s_mov_b32 m0, s0
	s_sendmsg sendmsg(MSG_INTERRUPT)
	s_mov_b32 m0, ttmp2
.LBB4_1881:                             ; =>This Inner Loop Header: Depth=1
	s_sethalt 5
	s_branch .LBB4_1881
.LBB4_1882:
	s_trap 2
	s_sendmsg_rtn_b32 s0, sendmsg(MSG_RTN_GET_DOORBELL)
	s_mov_b32 ttmp2, m0
	s_waitcnt lgkmcnt(0)
	s_and_b32 s0, s0, 0x3ff
	s_delay_alu instid0(SALU_CYCLE_1) | instskip(NEXT) | instid1(SALU_CYCLE_1)
	s_bitset1_b32 s0, 10
	s_mov_b32 m0, s0
	s_sendmsg sendmsg(MSG_INTERRUPT)
	s_mov_b32 m0, ttmp2
.LBB4_1883:                             ; =>This Inner Loop Header: Depth=1
	s_sethalt 5
	s_branch .LBB4_1883
.LBB4_1884:
	s_trap 2
	s_sendmsg_rtn_b32 s0, sendmsg(MSG_RTN_GET_DOORBELL)
	s_mov_b32 ttmp2, m0
	s_waitcnt lgkmcnt(0)
	s_and_b32 s0, s0, 0x3ff
	s_delay_alu instid0(SALU_CYCLE_1) | instskip(NEXT) | instid1(SALU_CYCLE_1)
	s_bitset1_b32 s0, 10
	s_mov_b32 m0, s0
	s_sendmsg sendmsg(MSG_INTERRUPT)
	s_mov_b32 m0, ttmp2
.LBB4_1885:                             ; =>This Inner Loop Header: Depth=1
	s_sethalt 5
	s_branch .LBB4_1885
.LBB4_1886:
	s_trap 2
	s_sendmsg_rtn_b32 s0, sendmsg(MSG_RTN_GET_DOORBELL)
	s_mov_b32 ttmp2, m0
	s_waitcnt lgkmcnt(0)
	s_and_b32 s0, s0, 0x3ff
	s_delay_alu instid0(SALU_CYCLE_1) | instskip(NEXT) | instid1(SALU_CYCLE_1)
	s_bitset1_b32 s0, 10
	s_mov_b32 m0, s0
	s_sendmsg sendmsg(MSG_INTERRUPT)
	s_mov_b32 m0, ttmp2
.LBB4_1887:                             ; =>This Inner Loop Header: Depth=1
	s_sethalt 5
	s_branch .LBB4_1887
.LBB4_1888:
	s_trap 2
	s_sendmsg_rtn_b32 s0, sendmsg(MSG_RTN_GET_DOORBELL)
	s_mov_b32 ttmp2, m0
	s_waitcnt lgkmcnt(0)
	s_and_b32 s0, s0, 0x3ff
	s_delay_alu instid0(SALU_CYCLE_1) | instskip(NEXT) | instid1(SALU_CYCLE_1)
	s_bitset1_b32 s0, 10
	s_mov_b32 m0, s0
	s_sendmsg sendmsg(MSG_INTERRUPT)
	s_mov_b32 m0, ttmp2
.LBB4_1889:                             ; =>This Inner Loop Header: Depth=1
	s_sethalt 5
	s_branch .LBB4_1889
.LBB4_1890:
	s_trap 2
	s_sendmsg_rtn_b32 s0, sendmsg(MSG_RTN_GET_DOORBELL)
	s_mov_b32 ttmp2, m0
	s_waitcnt lgkmcnt(0)
	s_and_b32 s0, s0, 0x3ff
	s_delay_alu instid0(SALU_CYCLE_1) | instskip(NEXT) | instid1(SALU_CYCLE_1)
	s_bitset1_b32 s0, 10
	s_mov_b32 m0, s0
	s_sendmsg sendmsg(MSG_INTERRUPT)
	s_mov_b32 m0, ttmp2
.LBB4_1891:                             ; =>This Inner Loop Header: Depth=1
	s_sethalt 5
	s_branch .LBB4_1891
.LBB4_1892:
	s_trap 2
	s_sendmsg_rtn_b32 s0, sendmsg(MSG_RTN_GET_DOORBELL)
	s_mov_b32 ttmp2, m0
	s_waitcnt lgkmcnt(0)
	s_and_b32 s0, s0, 0x3ff
	s_delay_alu instid0(SALU_CYCLE_1) | instskip(NEXT) | instid1(SALU_CYCLE_1)
	s_bitset1_b32 s0, 10
	s_mov_b32 m0, s0
	s_sendmsg sendmsg(MSG_INTERRUPT)
	s_mov_b32 m0, ttmp2
.LBB4_1893:                             ; =>This Inner Loop Header: Depth=1
	s_sethalt 5
	s_branch .LBB4_1893
.LBB4_1894:
	s_trap 2
	s_sendmsg_rtn_b32 s0, sendmsg(MSG_RTN_GET_DOORBELL)
	s_mov_b32 ttmp2, m0
	s_waitcnt lgkmcnt(0)
	s_and_b32 s0, s0, 0x3ff
	s_delay_alu instid0(SALU_CYCLE_1) | instskip(NEXT) | instid1(SALU_CYCLE_1)
	s_bitset1_b32 s0, 10
	s_mov_b32 m0, s0
	s_sendmsg sendmsg(MSG_INTERRUPT)
	s_mov_b32 m0, ttmp2
.LBB4_1895:                             ; =>This Inner Loop Header: Depth=1
	s_sethalt 5
	s_branch .LBB4_1895
.LBB4_1896:
	s_trap 2
	s_sendmsg_rtn_b32 s0, sendmsg(MSG_RTN_GET_DOORBELL)
	s_mov_b32 ttmp2, m0
	s_waitcnt lgkmcnt(0)
	s_and_b32 s0, s0, 0x3ff
	s_delay_alu instid0(SALU_CYCLE_1) | instskip(NEXT) | instid1(SALU_CYCLE_1)
	s_bitset1_b32 s0, 10
	s_mov_b32 m0, s0
	s_sendmsg sendmsg(MSG_INTERRUPT)
	s_mov_b32 m0, ttmp2
.LBB4_1897:                             ; =>This Inner Loop Header: Depth=1
	s_sethalt 5
	s_branch .LBB4_1897
.LBB4_1898:
	s_trap 2
	s_sendmsg_rtn_b32 s0, sendmsg(MSG_RTN_GET_DOORBELL)
	s_mov_b32 ttmp2, m0
	s_waitcnt lgkmcnt(0)
	s_and_b32 s0, s0, 0x3ff
	s_delay_alu instid0(SALU_CYCLE_1) | instskip(NEXT) | instid1(SALU_CYCLE_1)
	s_bitset1_b32 s0, 10
	s_mov_b32 m0, s0
	s_sendmsg sendmsg(MSG_INTERRUPT)
	s_mov_b32 m0, ttmp2
.LBB4_1899:                             ; =>This Inner Loop Header: Depth=1
	s_sethalt 5
	s_branch .LBB4_1899
.LBB4_1900:
	s_trap 2
	s_sendmsg_rtn_b32 s0, sendmsg(MSG_RTN_GET_DOORBELL)
	s_mov_b32 ttmp2, m0
	s_waitcnt lgkmcnt(0)
	s_and_b32 s0, s0, 0x3ff
	s_delay_alu instid0(SALU_CYCLE_1) | instskip(NEXT) | instid1(SALU_CYCLE_1)
	s_bitset1_b32 s0, 10
	s_mov_b32 m0, s0
	s_sendmsg sendmsg(MSG_INTERRUPT)
	s_mov_b32 m0, ttmp2
.LBB4_1901:                             ; =>This Inner Loop Header: Depth=1
	s_sethalt 5
	s_branch .LBB4_1901
.LBB4_1902:
	s_trap 2
	s_sendmsg_rtn_b32 s0, sendmsg(MSG_RTN_GET_DOORBELL)
	s_mov_b32 ttmp2, m0
	s_waitcnt lgkmcnt(0)
	s_and_b32 s0, s0, 0x3ff
	s_delay_alu instid0(SALU_CYCLE_1) | instskip(NEXT) | instid1(SALU_CYCLE_1)
	s_bitset1_b32 s0, 10
	s_mov_b32 m0, s0
	s_sendmsg sendmsg(MSG_INTERRUPT)
	s_mov_b32 m0, ttmp2
.LBB4_1903:                             ; =>This Inner Loop Header: Depth=1
	s_sethalt 5
	s_branch .LBB4_1903
.LBB4_1904:
	s_trap 2
	s_sendmsg_rtn_b32 s0, sendmsg(MSG_RTN_GET_DOORBELL)
	s_mov_b32 ttmp2, m0
	s_waitcnt lgkmcnt(0)
	s_and_b32 s0, s0, 0x3ff
	s_delay_alu instid0(SALU_CYCLE_1) | instskip(NEXT) | instid1(SALU_CYCLE_1)
	s_bitset1_b32 s0, 10
	s_mov_b32 m0, s0
	s_sendmsg sendmsg(MSG_INTERRUPT)
	s_mov_b32 m0, ttmp2
.LBB4_1905:                             ; =>This Inner Loop Header: Depth=1
	s_sethalt 5
	s_branch .LBB4_1905
.LBB4_1906:
	s_trap 2
	s_sendmsg_rtn_b32 s0, sendmsg(MSG_RTN_GET_DOORBELL)
	s_mov_b32 ttmp2, m0
	s_waitcnt lgkmcnt(0)
	s_and_b32 s0, s0, 0x3ff
	s_delay_alu instid0(SALU_CYCLE_1) | instskip(NEXT) | instid1(SALU_CYCLE_1)
	s_bitset1_b32 s0, 10
	s_mov_b32 m0, s0
	s_sendmsg sendmsg(MSG_INTERRUPT)
	s_mov_b32 m0, ttmp2
.LBB4_1907:                             ; =>This Inner Loop Header: Depth=1
	s_sethalt 5
	s_branch .LBB4_1907
.LBB4_1908:
	s_trap 2
	s_sendmsg_rtn_b32 s0, sendmsg(MSG_RTN_GET_DOORBELL)
	s_mov_b32 ttmp2, m0
	s_waitcnt lgkmcnt(0)
	s_and_b32 s0, s0, 0x3ff
	s_delay_alu instid0(SALU_CYCLE_1) | instskip(NEXT) | instid1(SALU_CYCLE_1)
	s_bitset1_b32 s0, 10
	s_mov_b32 m0, s0
	s_sendmsg sendmsg(MSG_INTERRUPT)
	s_mov_b32 m0, ttmp2
.LBB4_1909:                             ; =>This Inner Loop Header: Depth=1
	s_sethalt 5
	s_branch .LBB4_1909
.LBB4_1910:
	s_trap 2
	s_sendmsg_rtn_b32 s0, sendmsg(MSG_RTN_GET_DOORBELL)
	s_mov_b32 ttmp2, m0
	s_waitcnt lgkmcnt(0)
	s_and_b32 s0, s0, 0x3ff
	s_delay_alu instid0(SALU_CYCLE_1) | instskip(NEXT) | instid1(SALU_CYCLE_1)
	s_bitset1_b32 s0, 10
	s_mov_b32 m0, s0
	s_sendmsg sendmsg(MSG_INTERRUPT)
	s_mov_b32 m0, ttmp2
.LBB4_1911:                             ; =>This Inner Loop Header: Depth=1
	s_sethalt 5
	s_branch .LBB4_1911
.LBB4_1912:
	s_trap 2
	s_sendmsg_rtn_b32 s0, sendmsg(MSG_RTN_GET_DOORBELL)
	s_mov_b32 ttmp2, m0
	s_waitcnt lgkmcnt(0)
	s_and_b32 s0, s0, 0x3ff
	s_delay_alu instid0(SALU_CYCLE_1) | instskip(NEXT) | instid1(SALU_CYCLE_1)
	s_bitset1_b32 s0, 10
	s_mov_b32 m0, s0
	s_sendmsg sendmsg(MSG_INTERRUPT)
	s_mov_b32 m0, ttmp2
.LBB4_1913:                             ; =>This Inner Loop Header: Depth=1
	s_sethalt 5
	s_branch .LBB4_1913
.LBB4_1914:
	s_trap 2
	s_sendmsg_rtn_b32 s0, sendmsg(MSG_RTN_GET_DOORBELL)
	s_mov_b32 ttmp2, m0
	s_waitcnt lgkmcnt(0)
	s_and_b32 s0, s0, 0x3ff
	s_delay_alu instid0(SALU_CYCLE_1) | instskip(NEXT) | instid1(SALU_CYCLE_1)
	s_bitset1_b32 s0, 10
	s_mov_b32 m0, s0
	s_sendmsg sendmsg(MSG_INTERRUPT)
	s_mov_b32 m0, ttmp2
.LBB4_1915:                             ; =>This Inner Loop Header: Depth=1
	s_sethalt 5
	s_branch .LBB4_1915
.LBB4_1916:
	s_trap 2
	s_sendmsg_rtn_b32 s0, sendmsg(MSG_RTN_GET_DOORBELL)
	s_mov_b32 ttmp2, m0
	s_waitcnt lgkmcnt(0)
	s_and_b32 s0, s0, 0x3ff
	s_delay_alu instid0(SALU_CYCLE_1) | instskip(NEXT) | instid1(SALU_CYCLE_1)
	s_bitset1_b32 s0, 10
	s_mov_b32 m0, s0
	s_sendmsg sendmsg(MSG_INTERRUPT)
	s_mov_b32 m0, ttmp2
.LBB4_1917:                             ; =>This Inner Loop Header: Depth=1
	s_sethalt 5
	s_branch .LBB4_1917
.LBB4_1918:
	s_trap 2
	s_sendmsg_rtn_b32 s0, sendmsg(MSG_RTN_GET_DOORBELL)
	s_mov_b32 ttmp2, m0
	s_waitcnt lgkmcnt(0)
	s_and_b32 s0, s0, 0x3ff
	s_delay_alu instid0(SALU_CYCLE_1) | instskip(NEXT) | instid1(SALU_CYCLE_1)
	s_bitset1_b32 s0, 10
	s_mov_b32 m0, s0
	s_sendmsg sendmsg(MSG_INTERRUPT)
	s_mov_b32 m0, ttmp2
.LBB4_1919:                             ; =>This Inner Loop Header: Depth=1
	s_sethalt 5
	s_branch .LBB4_1919
.LBB4_1920:
	s_trap 2
	s_sendmsg_rtn_b32 s0, sendmsg(MSG_RTN_GET_DOORBELL)
	s_mov_b32 ttmp2, m0
	s_waitcnt lgkmcnt(0)
	s_and_b32 s0, s0, 0x3ff
	s_delay_alu instid0(SALU_CYCLE_1) | instskip(NEXT) | instid1(SALU_CYCLE_1)
	s_bitset1_b32 s0, 10
	s_mov_b32 m0, s0
	s_sendmsg sendmsg(MSG_INTERRUPT)
	s_mov_b32 m0, ttmp2
.LBB4_1921:                             ; =>This Inner Loop Header: Depth=1
	s_sethalt 5
	s_branch .LBB4_1921
.LBB4_1922:
	s_trap 2
	s_sendmsg_rtn_b32 s0, sendmsg(MSG_RTN_GET_DOORBELL)
	s_mov_b32 ttmp2, m0
	s_waitcnt lgkmcnt(0)
	s_and_b32 s0, s0, 0x3ff
	s_delay_alu instid0(SALU_CYCLE_1) | instskip(NEXT) | instid1(SALU_CYCLE_1)
	s_bitset1_b32 s0, 10
	s_mov_b32 m0, s0
	s_sendmsg sendmsg(MSG_INTERRUPT)
	s_mov_b32 m0, ttmp2
.LBB4_1923:                             ; =>This Inner Loop Header: Depth=1
	s_sethalt 5
	s_branch .LBB4_1923
.LBB4_1924:
	s_trap 2
	s_sendmsg_rtn_b32 s0, sendmsg(MSG_RTN_GET_DOORBELL)
	s_mov_b32 ttmp2, m0
	s_waitcnt lgkmcnt(0)
	s_and_b32 s0, s0, 0x3ff
	s_delay_alu instid0(SALU_CYCLE_1) | instskip(NEXT) | instid1(SALU_CYCLE_1)
	s_bitset1_b32 s0, 10
	s_mov_b32 m0, s0
	s_sendmsg sendmsg(MSG_INTERRUPT)
	s_mov_b32 m0, ttmp2
.LBB4_1925:                             ; =>This Inner Loop Header: Depth=1
	s_sethalt 5
	s_branch .LBB4_1925
.LBB4_1926:
	s_trap 2
	s_sendmsg_rtn_b32 s0, sendmsg(MSG_RTN_GET_DOORBELL)
	s_mov_b32 ttmp2, m0
	s_waitcnt lgkmcnt(0)
	s_and_b32 s0, s0, 0x3ff
	s_delay_alu instid0(SALU_CYCLE_1) | instskip(NEXT) | instid1(SALU_CYCLE_1)
	s_bitset1_b32 s0, 10
	s_mov_b32 m0, s0
	s_sendmsg sendmsg(MSG_INTERRUPT)
	s_mov_b32 m0, ttmp2
.LBB4_1927:                             ; =>This Inner Loop Header: Depth=1
	s_sethalt 5
	s_branch .LBB4_1927
.LBB4_1928:
	s_trap 2
	s_sendmsg_rtn_b32 s0, sendmsg(MSG_RTN_GET_DOORBELL)
	s_mov_b32 ttmp2, m0
	s_waitcnt lgkmcnt(0)
	s_and_b32 s0, s0, 0x3ff
	s_delay_alu instid0(SALU_CYCLE_1) | instskip(NEXT) | instid1(SALU_CYCLE_1)
	s_bitset1_b32 s0, 10
	s_mov_b32 m0, s0
	s_sendmsg sendmsg(MSG_INTERRUPT)
	s_mov_b32 m0, ttmp2
.LBB4_1929:                             ; =>This Inner Loop Header: Depth=1
	s_sethalt 5
	s_branch .LBB4_1929
.LBB4_1930:
	s_trap 2
	s_sendmsg_rtn_b32 s0, sendmsg(MSG_RTN_GET_DOORBELL)
	s_mov_b32 ttmp2, m0
	s_waitcnt lgkmcnt(0)
	s_and_b32 s0, s0, 0x3ff
	s_delay_alu instid0(SALU_CYCLE_1) | instskip(NEXT) | instid1(SALU_CYCLE_1)
	s_bitset1_b32 s0, 10
	s_mov_b32 m0, s0
	s_sendmsg sendmsg(MSG_INTERRUPT)
	s_mov_b32 m0, ttmp2
.LBB4_1931:                             ; =>This Inner Loop Header: Depth=1
	s_sethalt 5
	s_branch .LBB4_1931
.LBB4_1932:
	s_trap 2
	s_sendmsg_rtn_b32 s0, sendmsg(MSG_RTN_GET_DOORBELL)
	s_mov_b32 ttmp2, m0
	s_waitcnt lgkmcnt(0)
	s_and_b32 s0, s0, 0x3ff
	s_delay_alu instid0(SALU_CYCLE_1) | instskip(NEXT) | instid1(SALU_CYCLE_1)
	s_bitset1_b32 s0, 10
	s_mov_b32 m0, s0
	s_sendmsg sendmsg(MSG_INTERRUPT)
	s_mov_b32 m0, ttmp2
.LBB4_1933:                             ; =>This Inner Loop Header: Depth=1
	s_sethalt 5
	s_branch .LBB4_1933
.LBB4_1934:
	s_trap 2
	s_sendmsg_rtn_b32 s0, sendmsg(MSG_RTN_GET_DOORBELL)
	s_mov_b32 ttmp2, m0
	s_waitcnt lgkmcnt(0)
	s_and_b32 s0, s0, 0x3ff
	s_delay_alu instid0(SALU_CYCLE_1) | instskip(NEXT) | instid1(SALU_CYCLE_1)
	s_bitset1_b32 s0, 10
	s_mov_b32 m0, s0
	s_sendmsg sendmsg(MSG_INTERRUPT)
	s_mov_b32 m0, ttmp2
.LBB4_1935:                             ; =>This Inner Loop Header: Depth=1
	s_sethalt 5
	s_branch .LBB4_1935
.LBB4_1936:
	s_trap 2
	s_sendmsg_rtn_b32 s0, sendmsg(MSG_RTN_GET_DOORBELL)
	s_mov_b32 ttmp2, m0
	s_waitcnt lgkmcnt(0)
	s_and_b32 s0, s0, 0x3ff
	s_delay_alu instid0(SALU_CYCLE_1) | instskip(NEXT) | instid1(SALU_CYCLE_1)
	s_bitset1_b32 s0, 10
	s_mov_b32 m0, s0
	s_sendmsg sendmsg(MSG_INTERRUPT)
	s_mov_b32 m0, ttmp2
.LBB4_1937:                             ; =>This Inner Loop Header: Depth=1
	s_sethalt 5
	s_branch .LBB4_1937
.LBB4_1938:
	s_trap 2
	s_sendmsg_rtn_b32 s0, sendmsg(MSG_RTN_GET_DOORBELL)
	s_mov_b32 ttmp2, m0
	s_waitcnt lgkmcnt(0)
	s_and_b32 s0, s0, 0x3ff
	s_delay_alu instid0(SALU_CYCLE_1) | instskip(NEXT) | instid1(SALU_CYCLE_1)
	s_bitset1_b32 s0, 10
	s_mov_b32 m0, s0
	s_sendmsg sendmsg(MSG_INTERRUPT)
	s_mov_b32 m0, ttmp2
.LBB4_1939:                             ; =>This Inner Loop Header: Depth=1
	s_sethalt 5
	s_branch .LBB4_1939
.Lfunc_end4:
	.size	_ZN12_GLOBAL__N_17runRingIh14FuncSumPostDivIhE11ProtoSimpleILi2ELi2ELi0ELi2ELi0ELi0EELi0ELi0ELi2ELi0EEEviiP15ncclDevWorkColl, .Lfunc_end4-_ZN12_GLOBAL__N_17runRingIh14FuncSumPostDivIhE11ProtoSimpleILi2ELi2ELi0ELi2ELi0ELi0EELi0ELi0ELi2ELi0EEEviiP15ncclDevWorkColl
                                        ; -- End function
	.section	.AMDGPU.csdata,"",@progbits
; Function info:
; codeLenInByte = 74968
; NumSgprs: 56
; NumVgprs: 184
; ScratchSize: 336
; MemoryBound: 1
	.text
	.p2align	2                               ; -- Begin function _Z53ncclDevFunc_AllReduce_RING_SIMPLE_SumPostDiv_u8_0_0_2v
	.type	_Z53ncclDevFunc_AllReduce_RING_SIMPLE_SumPostDiv_u8_0_0_2v,@function
_Z53ncclDevFunc_AllReduce_RING_SIMPLE_SumPostDiv_u8_0_0_2v: ; @_Z53ncclDevFunc_AllReduce_RING_SIMPLE_SumPostDiv_u8_0_0_2v
; %bb.0:
	s_waitcnt vmcnt(0) expcnt(0) lgkmcnt(0)
	s_mov_b32 s0, s33
	s_mov_b32 s33, s32
	s_or_saveexec_b32 s1, -1
	scratch_store_b32 off, v42, s33 offset:16 ; 4-byte Folded Spill
	s_mov_b32 exec_lo, s1
	v_writelane_b32 v42, s0, 28
	s_add_i32 s32, s32, 32
	s_clause 0x3
	scratch_store_b32 off, v40, s33 offset:12
	; meta instruction
	scratch_store_b32 off, v41, s33 offset:8
	; meta instruction
	;; [unrolled: 2-line block ×3, first 2 shown]
	scratch_store_b32 off, v168, s33
	v_writelane_b32 v42, s34, 0
	v_writelane_b32 v42, s35, 1
	;; [unrolled: 1-line block ×28, first 2 shown]
	s_cbranch_execnz .LBB5_7
; %bb.1:
	ds_load_b32 v0, v0
	v_and_b32_e32 v40, 0x3ff, v31
	s_mov_b32 s0, exec_lo
	s_waitcnt lgkmcnt(0)
	s_delay_alu instid0(VALU_DEP_1)
	v_cmpx_lt_i32_e64 v40, v0
	s_cbranch_execz .LBB5_9
; %bb.2:
	s_load_b32 s1, s[8:9], 0x0
	v_mov_b32_e32 v1, 0
	s_waitcnt lgkmcnt(0)
	s_cmp_lt_u32 s12, s1
	s_cselect_b32 s1, 12, 18
	s_delay_alu instid0(SALU_CYCLE_1)
	s_add_u32 s2, s8, s1
	s_addc_u32 s3, s9, 0
	s_mov_b32 s1, 0
	global_load_u16 v1, v1, s[2:3]
	s_cbranch_execnz .LBB5_24
; %bb.3:
	ds_load_b32 v2, v0
	v_mov_b32_e32 v3, v40
                                        ; implicit-def: $vgpr4
	s_waitcnt vmcnt(0) lgkmcnt(0)
	v_mul_lo_u32 v2, v2, v1
	s_branch .LBB5_5
	.p2align	6
.LBB5_4:                                ;   in Loop: Header=BB5_5 Depth=1
	s_or_b32 exec_lo, exec_lo, s2
	v_add_nc_u32_e32 v3, v3, v1
	v_add_nc_u32_e32 v4, v4, v2
	s_delay_alu instid0(VALU_DEP_2) | instskip(SKIP_1) | instid1(SALU_CYCLE_1)
	v_cmp_ge_i32_e32 vcc_lo, v3, v0
	s_or_b32 s1, vcc_lo, s1
	s_and_not1_b32 exec_lo, exec_lo, s1
	s_cbranch_execz .LBB5_9
.LBB5_5:                                ; =>This Inner Loop Header: Depth=1
	ds_load_b32 v5, v4
	s_mov_b32 s2, exec_lo
	s_waitcnt lgkmcnt(0)
	v_and_b32_e32 v5, 0x1000000, v5
	s_delay_alu instid0(VALU_DEP_1)
	v_cmpx_ne_u32_e32 0, v5
	s_cbranch_execz .LBB5_4
; %bb.6:                                ;   in Loop: Header=BB5_5 Depth=1
	ds_load_b64 v[5:6], v4 offset:104
	s_waitcnt lgkmcnt(0)
	flat_load_b64 v[5:6], v[5:6]
	s_waitcnt vmcnt(0) lgkmcnt(0)
	ds_store_b64 v4, v[5:6] offset:104
	s_branch .LBB5_4
.LBB5_7:
	s_trap 2
	s_sendmsg_rtn_b32 s0, sendmsg(MSG_RTN_GET_DOORBELL)
	s_mov_b32 ttmp2, m0
	s_waitcnt lgkmcnt(0)
	s_and_b32 s0, s0, 0x3ff
	s_delay_alu instid0(SALU_CYCLE_1) | instskip(NEXT) | instid1(SALU_CYCLE_1)
	s_bitset1_b32 s0, 10
	s_mov_b32 m0, s0
	s_sendmsg sendmsg(MSG_INTERRUPT)
	s_mov_b32 m0, ttmp2
.LBB5_8:                                ; =>This Inner Loop Header: Depth=1
	s_sethalt 5
	s_branch .LBB5_8
.LBB5_9:
	s_or_b32 exec_lo, exec_lo, s0
	s_waitcnt lgkmcnt(0)
	s_waitcnt_vscnt null, 0x0
	s_barrier
	buffer_gl0_inv
	s_cbranch_execnz .LBB5_22
; %bb.10:
	ds_load_b32 v0, v0
	s_waitcnt lgkmcnt(0)
	v_cmp_gt_i32_e32 vcc_lo, 1, v0
	s_cbranch_vccnz .LBB5_21
; %bb.11:
	s_mov_b32 s58, 0
	s_mov_b64 s[56:57], src_shared_base
.LBB5_12:                               ; =>This Inner Loop Header: Depth=1
	s_cbranch_execnz .LBB5_26
; %bb.13:                               ;   in Loop: Header=BB5_12 Depth=1
	ds_load_b32 v0, v0
	s_cmp_eq_u32 s58, 0
	s_cbranch_scc1 .LBB5_17
; %bb.14:                               ;   in Loop: Header=BB5_12 Depth=1
	s_cbranch_execnz .LBB5_30
; %bb.15:                               ;   in Loop: Header=BB5_12 Depth=1
	s_waitcnt lgkmcnt(0)
	ds_load_b32 v1, v0
	s_waitcnt lgkmcnt(0)
	v_xor_b32_e32 v1, v1, v0
	s_delay_alu instid0(VALU_DEP_1) | instskip(NEXT) | instid1(VALU_DEP_1)
	v_and_b32_e32 v1, 0xff0000, v1
	v_cmp_eq_u32_e32 vcc_lo, 0, v1
	s_cbranch_vccnz .LBB5_17
; %bb.16:                               ;   in Loop: Header=BB5_12 Depth=1
	s_waitcnt_vscnt null, 0x0
	s_barrier
	buffer_gl0_inv
	ds_load_b32 v0, v0
.LBB5_17:                               ;   in Loop: Header=BB5_12 Depth=1
	s_waitcnt lgkmcnt(0)
	v_lshrrev_b32_e32 v0, 11, v0
	s_mov_b32 s59, exec_lo
	s_delay_alu instid0(VALU_DEP_1) | instskip(NEXT) | instid1(VALU_DEP_1)
	v_and_b32_e32 v1, 0x1fe0, v0
	v_cmpx_lt_u32_e64 v40, v1
	s_cbranch_execz .LBB5_19
; %bb.18:                               ;   in Loop: Header=BB5_12 Depth=1
	v_dual_mov_b32 v41, v31 :: v_dual_mov_b32 v0, v40
	v_mov_b32_e32 v3, s57
	s_getpc_b64 s[0:1]
	s_add_u32 s0, s0, _ZN12_GLOBAL__N_17runRingIh14FuncSumPostDivIhE11ProtoSimpleILi2ELi2ELi0ELi2ELi0ELi0EELi0ELi0ELi2ELi0EEEviiP15ncclDevWorkColl@rel32@lo+4
	s_addc_u32 s1, s1, _ZN12_GLOBAL__N_17runRingIh14FuncSumPostDivIhE11ProtoSimpleILi2ELi2ELi0ELi2ELi0ELi0EELi0ELi0ELi2ELi0EEEviiP15ncclDevWorkColl@rel32@hi+12
	s_mov_b64 s[54:55], s[8:9]
	s_mov_b32 s56, s12
	s_swappc_b64 s[30:31], s[0:1]
	v_mov_b32_e32 v31, v41
	s_mov_b32 s12, s56
	s_mov_b64 s[8:9], s[54:55]
.LBB5_19:                               ;   in Loop: Header=BB5_12 Depth=1
	s_or_b32 exec_lo, exec_lo, s59
	s_cbranch_execnz .LBB5_28
; %bb.20:                               ;   in Loop: Header=BB5_12 Depth=1
	ds_load_b32 v0, v0
	s_add_i32 s58, s58, 1
	s_waitcnt lgkmcnt(0)
	v_cmp_lt_i32_e32 vcc_lo, s58, v0
	s_cbranch_vccnz .LBB5_12
.LBB5_21:
	s_clause 0x3
	scratch_load_b32 v168, off, s33
	scratch_load_b32 v159, off, s33 offset:4
	scratch_load_b32 v41, off, s33 offset:8
	scratch_load_b32 v40, off, s33 offset:12
	v_readlane_b32 s30, v42, 26
	v_readlane_b32 s31, v42, 27
	;; [unrolled: 1-line block ×29, first 2 shown]
	s_or_saveexec_b32 s1, -1
	scratch_load_b32 v42, off, s33 offset:16 ; 4-byte Folded Reload
	s_mov_b32 exec_lo, s1
	s_addk_i32 s32, 0xffe0
	s_mov_b32 s33, s0
	s_waitcnt vmcnt(0)
	s_setpc_b64 s[30:31]
.LBB5_22:
	s_trap 2
	s_sendmsg_rtn_b32 s0, sendmsg(MSG_RTN_GET_DOORBELL)
	s_mov_b32 ttmp2, m0
	s_waitcnt lgkmcnt(0)
	s_and_b32 s0, s0, 0x3ff
	s_delay_alu instid0(SALU_CYCLE_1) | instskip(NEXT) | instid1(SALU_CYCLE_1)
	s_bitset1_b32 s0, 10
	s_mov_b32 m0, s0
	s_sendmsg sendmsg(MSG_INTERRUPT)
	s_mov_b32 m0, ttmp2
.LBB5_23:                               ; =>This Inner Loop Header: Depth=1
	s_sethalt 5
	s_branch .LBB5_23
.LBB5_24:
	s_trap 2
	s_sendmsg_rtn_b32 s0, sendmsg(MSG_RTN_GET_DOORBELL)
	s_mov_b32 ttmp2, m0
	s_waitcnt lgkmcnt(0)
	s_and_b32 s0, s0, 0x3ff
	s_delay_alu instid0(SALU_CYCLE_1) | instskip(NEXT) | instid1(SALU_CYCLE_1)
	s_bitset1_b32 s0, 10
	s_mov_b32 m0, s0
	s_sendmsg sendmsg(MSG_INTERRUPT)
	s_mov_b32 m0, ttmp2
.LBB5_25:                               ; =>This Inner Loop Header: Depth=1
	s_sethalt 5
	s_branch .LBB5_25
.LBB5_26:
	s_trap 2
	s_sendmsg_rtn_b32 s0, sendmsg(MSG_RTN_GET_DOORBELL)
	s_mov_b32 ttmp2, m0
	s_waitcnt lgkmcnt(0)
	s_and_b32 s0, s0, 0x3ff
	s_delay_alu instid0(SALU_CYCLE_1) | instskip(NEXT) | instid1(SALU_CYCLE_1)
	s_bitset1_b32 s0, 10
	s_mov_b32 m0, s0
	s_sendmsg sendmsg(MSG_INTERRUPT)
	s_mov_b32 m0, ttmp2
.LBB5_27:                               ; =>This Inner Loop Header: Depth=1
	s_sethalt 5
	s_branch .LBB5_27
.LBB5_28:
	s_trap 2
	s_sendmsg_rtn_b32 s0, sendmsg(MSG_RTN_GET_DOORBELL)
	s_mov_b32 ttmp2, m0
	s_waitcnt lgkmcnt(0)
	s_and_b32 s0, s0, 0x3ff
	s_delay_alu instid0(SALU_CYCLE_1) | instskip(NEXT) | instid1(SALU_CYCLE_1)
	s_bitset1_b32 s0, 10
	s_mov_b32 m0, s0
	s_sendmsg sendmsg(MSG_INTERRUPT)
	s_mov_b32 m0, ttmp2
.LBB5_29:                               ; =>This Inner Loop Header: Depth=1
	s_sethalt 5
	s_branch .LBB5_29
.LBB5_30:
	s_trap 2
	s_sendmsg_rtn_b32 s0, sendmsg(MSG_RTN_GET_DOORBELL)
	s_mov_b32 ttmp2, m0
	s_waitcnt lgkmcnt(0)
	s_and_b32 s0, s0, 0x3ff
	s_delay_alu instid0(SALU_CYCLE_1) | instskip(NEXT) | instid1(SALU_CYCLE_1)
	s_bitset1_b32 s0, 10
	s_mov_b32 m0, s0
	s_sendmsg sendmsg(MSG_INTERRUPT)
	s_mov_b32 m0, ttmp2
.LBB5_31:                               ; =>This Inner Loop Header: Depth=1
	s_sethalt 5
	s_branch .LBB5_31
.Lfunc_end5:
	.size	_Z53ncclDevFunc_AllReduce_RING_SIMPLE_SumPostDiv_u8_0_0_2v, .Lfunc_end5-_Z53ncclDevFunc_AllReduce_RING_SIMPLE_SumPostDiv_u8_0_0_2v
                                        ; -- End function
	.section	.AMDGPU.csdata,"",@progbits
; Function info:
; codeLenInByte = 1408
; NumSgprs: 62
; NumVgprs: 184
; ScratchSize: 368
; MemoryBound: 0
	.text
	.p2align	2                               ; -- Begin function _ZN12_GLOBAL__N_17runRingIh14FuncSumPostDivIhE11ProtoSimpleILi2ELi2ELi0ELi4ELi0ELi0EELi0ELi0ELi4ELi0EEEviiP15ncclDevWorkColl
	.type	_ZN12_GLOBAL__N_17runRingIh14FuncSumPostDivIhE11ProtoSimpleILi2ELi2ELi0ELi4ELi0ELi0EELi0ELi0ELi4ELi0EEEviiP15ncclDevWorkColl,@function
_ZN12_GLOBAL__N_17runRingIh14FuncSumPostDivIhE11ProtoSimpleILi2ELi2ELi0ELi4ELi0ELi0EELi0ELi0ELi4ELi0EEEviiP15ncclDevWorkColl: ; @_ZN12_GLOBAL__N_17runRingIh14FuncSumPostDivIhE11ProtoSimpleILi2ELi2ELi0ELi4ELi0ELi0EELi0ELi0ELi4ELi0EEEviiP15ncclDevWorkColl
; %bb.0:
	s_waitcnt vmcnt(0) expcnt(0) lgkmcnt(0)
	s_mov_b32 s0, s33
	s_mov_b32 s33, s32
	s_or_saveexec_b32 s1, -1
	s_clause 0x1
	scratch_store_b32 off, v172, s33 offset:272
	; meta instruction
	scratch_store_b32 off, v173, s33 offset:276
	s_mov_b32 exec_lo, s1
	v_writelane_b32 v172, s0, 22
	s_addk_i32 s32, 0x120
	s_clause 0x1f
	scratch_store_b32 off, v40, s33 offset:268
	; meta instruction
	scratch_store_b32 off, v41, s33 offset:264
	; meta instruction
	;; [unrolled: 2-line block ×31, first 2 shown]
	scratch_store_b32 off, v95, s33 offset:144
	s_clause 0x1f
	scratch_store_b32 off, v104, s33 offset:140
	; meta instruction
	scratch_store_b32 off, v105, s33 offset:136
	; meta instruction
	;; [unrolled: 2-line block ×31, first 2 shown]
	scratch_store_b32 off, v159, s33 offset:16
	s_clause 0x3
	scratch_store_b32 off, v168, s33 offset:12
	; meta instruction
	scratch_store_b32 off, v169, s33 offset:8
	; meta instruction
	;; [unrolled: 2-line block ×3, first 2 shown]
	scratch_store_b32 off, v171, s33
	v_writelane_b32 v172, s34, 0
	v_writelane_b32 v172, s35, 1
	v_writelane_b32 v172, s36, 2
	v_writelane_b32 v172, s37, 3
	v_writelane_b32 v172, s38, 4
	v_writelane_b32 v172, s39, 5
	v_writelane_b32 v172, s40, 6
	v_writelane_b32 v172, s41, 7
	v_writelane_b32 v172, s42, 8
	v_writelane_b32 v172, s43, 9
	v_writelane_b32 v172, s44, 10
	v_writelane_b32 v172, s45, 11
	v_writelane_b32 v172, s46, 12
	v_writelane_b32 v172, s47, 13
	v_writelane_b32 v172, s48, 14
	v_writelane_b32 v172, s49, 15
	v_writelane_b32 v172, s50, 16
	v_writelane_b32 v172, s51, 17
	v_writelane_b32 v172, s52, 18
	v_writelane_b32 v172, s53, 19
	v_writelane_b32 v172, s30, 20
	v_writelane_b32 v172, s31, 21
	s_cbranch_execnz .LBB6_1402
; %bb.1:
	flat_load_b32 v7, v[2:3]
	ds_load_b32 v6, v0
	s_mov_b32 s0, exec_lo
                                        ; implicit-def: $vgpr14_vgpr15
                                        ; implicit-def: $vgpr24_vgpr25
                                        ; implicit-def: $vgpr4_vgpr5
	s_waitcnt lgkmcnt(0)
	v_readfirstlane_b32 s23, v6
	s_waitcnt vmcnt(0)
	v_and_b32_e32 v8, 0xff, v7
	s_delay_alu instid0(VALU_DEP_1)
	v_cmpx_ne_u32_e64 v8, v6
	s_xor_b32 s0, exec_lo, s0
	s_cbranch_execnz .LBB6_1404
; %bb.2:
	s_and_not1_saveexec_b32 s0, s0
	s_cbranch_execnz .LBB6_1409
.LBB6_3:
	s_or_b32 exec_lo, exec_lo, s0
	s_cbranch_execnz .LBB6_1410
.LBB6_4:
	ds_load_b64 v[6:7], v0
	s_mov_b32 s1, exec_lo
	s_waitcnt lgkmcnt(0)
	v_cmp_ne_u32_e32 vcc_lo, -1, v6
	v_cndmask_b32_e64 v17, 0, 1, vcc_lo
	v_cmp_ne_u32_e32 vcc_lo, -1, v7
	s_delay_alu instid0(VALU_DEP_2) | instskip(NEXT) | instid1(VALU_DEP_1)
	v_add_co_ci_u32_e64 v8, s0, 0, v17, vcc_lo
	v_lshlrev_b32_e32 v6, 1, v8
	s_delay_alu instid0(VALU_DEP_1)
	v_cmpx_le_i32_e64 v6, v1
	s_xor_b32 s30, exec_lo, s1
	s_cbranch_execz .LBB6_1653
; %bb.5:
	s_clause 0x3
	flat_load_b64 v[15:16], v[2:3] offset:104
	flat_load_b128 v[10:13], v[2:3] offset:16
	flat_load_u16 v7, v[2:3] offset:8
	flat_load_b32 v6, v[2:3] offset:4
	s_cbranch_execnz .LBB6_1412
; %bb.6:
	s_load_b32 s0, s[8:9], 0x0
	v_dual_mov_b32 v9, 0 :: v_dual_mov_b32 v30, 4
	s_waitcnt lgkmcnt(0)
	s_cmp_lt_u32 s12, s0
	s_cselect_b32 s0, 12, 18
	s_delay_alu instid0(SALU_CYCLE_1)
	s_add_u32 s0, s8, s0
	s_addc_u32 s1, s9, 0
	global_load_u16 v18, v9, s[0:1]
	ds_load_b32 v9, v0
	s_mov_b32 s1, exec_lo
	s_waitcnt lgkmcnt(0)
	v_readfirstlane_b32 s5, v9
	v_cmpx_ge_i32_e64 v0, v17
	s_cbranch_execz .LBB6_16
; %bb.7:
	v_cmp_le_u32_e64 s0, v8, v0
                                        ; implicit-def: $vgpr30
	s_delay_alu instid0(VALU_DEP_1) | instskip(NEXT) | instid1(SALU_CYCLE_1)
	s_and_saveexec_b32 s2, s0
	s_xor_b32 s0, exec_lo, s2
	s_cbranch_execz .LBB6_13
; %bb.8:
	v_cndmask_b32_e64 v9, 0, 1, vcc_lo
	s_mov_b32 s2, exec_lo
                                        ; implicit-def: $sgpr3
	s_delay_alu instid0(VALU_DEP_1) | instskip(NEXT) | instid1(VALU_DEP_1)
	v_sub_nc_u32_e32 v9, v1, v9
	v_cmpx_ge_u32_e64 v0, v9
	s_xor_b32 s2, exec_lo, s2
; %bb.9:
	s_mov_b32 s3, 16
                                        ; implicit-def: $vgpr8
; %bb.10:
	s_or_saveexec_b32 s2, s2
	v_mov_b32_e32 v30, s3
	s_xor_b32 exec_lo, exec_lo, s2
; %bb.11:
	v_sub_nc_u32_e32 v8, v1, v8
	s_delay_alu instid0(VALU_DEP_1) | instskip(SKIP_1) | instid1(VALU_DEP_1)
	v_cmp_ge_i32_e32 vcc_lo, v0, v8
	v_cndmask_b32_e64 v8, 0, 1, vcc_lo
	v_lshlrev_b32_e32 v30, 5, v8
; %bb.12:
	s_or_b32 exec_lo, exec_lo, s2
.LBB6_13:
	s_and_not1_saveexec_b32 s0, s0
; %bb.14:
	v_mov_b32_e32 v30, 8
; %bb.15:
	s_or_b32 exec_lo, exec_lo, s0
.LBB6_16:
	s_delay_alu instid0(SALU_CYCLE_1) | instskip(NEXT) | instid1(VALU_DEP_1)
	s_or_b32 exec_lo, exec_lo, s1
	v_and_b32_e32 v8, 36, v30
	s_delay_alu instid0(VALU_DEP_1)
	v_cmp_ne_u32_e32 vcc_lo, 0, v8
	v_mov_b32_e32 v8, -1
	s_and_saveexec_b32 s0, vcc_lo
	s_cbranch_execz .LBB6_19
; %bb.17:
	s_cbranch_execnz .LBB6_1414
; %bb.18:
	ds_load_b32 v8, v0
.LBB6_19:
	s_or_b32 exec_lo, exec_lo, s0
	v_and_b32_e32 v9, 24, v30
	s_mov_b32 s1, exec_lo
	s_delay_alu instid0(VALU_DEP_1)
	v_cmpx_ne_u32_e32 0, v9
	s_cbranch_execz .LBB6_22
; %bb.20:
	s_cbranch_execnz .LBB6_1416
; %bb.21:
	s_waitcnt lgkmcnt(0)
	ds_load_b32 v8, v0
.LBB6_22:
	s_or_b32 exec_lo, exec_lo, s1
	s_waitcnt vmcnt(1)
	v_lshrrev_b64 v[6:7], 31, v[6:7]
	v_mov_b32_e32 v28, 0
	v_mov_b32_e32 v29, 0
                                        ; implicit-def: $vgpr26_vgpr27
                                        ; implicit-def: $vgpr86
                                        ; implicit-def: $vgpr34_vgpr35
                                        ; implicit-def: $vgpr36_vgpr37
                                        ; implicit-def: $vgpr50_vgpr51
                                        ; implicit-def: $vgpr32_vgpr33
	s_delay_alu instid0(VALU_DEP_2) | instskip(NEXT) | instid1(VALU_DEP_2)
	v_dual_mov_b32 v6, v28 :: v_dual_and_b32 v19, 3, v6
	v_mov_b32_e32 v7, v29
	s_and_saveexec_b32 s0, vcc_lo
	s_cbranch_execz .LBB6_35
; %bb.23:
	s_cbranch_execnz .LBB6_1418
; %bb.24:
	ds_load_b64 v[6:7], v0
	s_waitcnt lgkmcnt(1)
	v_ashrrev_i32_e32 v9, 31, v8
	s_mov_b32 s1, exec_lo
                                        ; implicit-def: $vgpr26_vgpr27
	s_delay_alu instid0(VALU_DEP_1) | instskip(SKIP_2) | instid1(VALU_DEP_2)
	v_lshlrev_b64 v[20:21], 3, v[8:9]
	v_and_b32_e32 v9, 0xffff, v19
	s_waitcnt lgkmcnt(0)
	v_add_co_u32 v6, vcc_lo, v6, v20
	s_delay_alu instid0(VALU_DEP_3)
	v_add_co_ci_u32_e32 v7, vcc_lo, v7, v21, vcc_lo
	flat_load_b64 v[6:7], v[6:7]
	s_waitcnt vmcnt(0) lgkmcnt(0)
	v_mad_u64_u32 v[20:21], null, 0xa8, v9, v[6:7]
	flat_load_b32 v6, v[20:21] offset:640
	v_add_co_u32 v28, vcc_lo, 0x1f8, v20
	v_add_co_ci_u32_e32 v29, vcc_lo, 0, v21, vcc_lo
	s_waitcnt vmcnt(0) lgkmcnt(0)
	v_cmpx_eq_u32_e32 1, v6
	s_cbranch_execz .LBB6_27
; %bb.25:
	flat_load_b64 v[26:27], v[28:29] offset:144
	s_waitcnt vmcnt(0) lgkmcnt(0)
	flat_load_b64 v[6:7], v[26:27]
	s_cbranch_execnz .LBB6_1426
; %bb.26:
	s_waitcnt vmcnt(0) lgkmcnt(0)
	ds_store_b64 v0, v[6:7]
	flat_load_b64 v[6:7], v[26:27] offset:8
	v_or_b32_e32 v30, 0x2000, v30
	s_waitcnt vmcnt(0) lgkmcnt(0)
	ds_store_b64 v0, v[6:7]
	flat_load_b64 v[6:7], v[26:27] offset:16
	s_waitcnt vmcnt(0) lgkmcnt(0)
	ds_store_b64 v0, v[6:7]
.LBB6_27:
	s_or_b32 exec_lo, exec_lo, s1
	flat_load_b64 v[6:7], v[28:29] offset:104
	v_and_b32_e32 v9, 32, v30
	s_mov_b32 s1, exec_lo
                                        ; implicit-def: $vgpr32_vgpr33
	s_waitcnt vmcnt(0) lgkmcnt(0)
	v_add_co_u32 v6, vcc_lo, v6, 3
	v_add_co_ci_u32_e32 v35, vcc_lo, 0, v7, vcc_lo
	s_delay_alu instid0(VALU_DEP_2)
	v_and_b32_e32 v34, -4, v6
	v_cmpx_ne_u32_e32 0, v9
	s_cbranch_execz .LBB6_29
; %bb.28:
	flat_load_b64 v[32:33], v[28:29] offset:56
	s_waitcnt vmcnt(0) lgkmcnt(0)
	s_waitcnt_vscnt null, 0x0
	flat_store_b64 v[32:33], v[34:35]
.LBB6_29:
	s_or_b32 exec_lo, exec_lo, s1
	v_dual_mov_b32 v6, 0 :: v_dual_and_b32 v9, 4, v30
	v_mov_b32_e32 v7, 0
	s_mov_b32 s1, exec_lo
                                        ; implicit-def: $vgpr86
                                        ; implicit-def: $vgpr36_vgpr37
                                        ; implicit-def: $vgpr50_vgpr51
	s_delay_alu instid0(VALU_DEP_2)
	v_cmpx_ne_u32_e32 0, v9
	s_cbranch_execz .LBB6_34
; %bb.30:
	v_and_b32_e32 v6, 0x800, v30
	s_mov_b32 s2, exec_lo
	s_delay_alu instid0(VALU_DEP_1)
	v_cmpx_eq_u32_e32 0, v6
	s_cbranch_execz .LBB6_33
; %bb.31:
	s_cbranch_execnz .LBB6_1428
; %bb.32:
	ds_store_b64 v0, v[28:29]
.LBB6_33:
	s_or_b32 exec_lo, exec_lo, s2
	flat_load_b64 v[32:33], v[28:29] offset:48
	v_or_b32_e32 v9, 0x100, v30
	s_waitcnt vmcnt(0) lgkmcnt(0)
	flat_load_b64 v[50:51], v[32:33] glc
	s_clause 0x2
	flat_load_b64 v[6:7], v[28:29] offset:96
	flat_load_b32 v86, v[28:29] offset:72
	flat_load_b64 v[36:37], v[28:29] offset:16
	s_waitcnt vmcnt(2) lgkmcnt(2)
	v_cmp_eq_u64_e32 vcc_lo, 0, v[6:7]
	v_cndmask_b32_e32 v30, v9, v30, vcc_lo
.LBB6_34:
	s_or_b32 exec_lo, exec_lo, s1
.LBB6_35:
	s_delay_alu instid0(SALU_CYCLE_1) | instskip(NEXT) | instid1(VALU_DEP_1)
	s_or_b32 exec_lo, exec_lo, s0
	v_and_b32_e32 v9, 24, v30
	s_mov_b32 s0, exec_lo
                                        ; implicit-def: $vgpr38_vgpr39
	s_delay_alu instid0(VALU_DEP_1)
	v_cmpx_ne_u32_e32 0, v9
	s_cbranch_execz .LBB6_45
; %bb.36:
	s_cbranch_execnz .LBB6_1420
; %bb.37:
	ds_load_b64 v[6:7], v0
	s_waitcnt lgkmcnt(1)
	v_ashrrev_i32_e32 v9, 31, v8
	s_mov_b32 s1, exec_lo
                                        ; implicit-def: $vgpr38_vgpr39
	s_delay_alu instid0(VALU_DEP_1) | instskip(SKIP_1) | instid1(VALU_DEP_1)
	v_lshlrev_b64 v[8:9], 3, v[8:9]
	s_waitcnt lgkmcnt(0)
	v_add_co_u32 v6, vcc_lo, v6, v8
	s_delay_alu instid0(VALU_DEP_2)
	v_add_co_ci_u32_e32 v7, vcc_lo, v7, v9, vcc_lo
	v_and_b32_e32 v8, 0xffff, v19
	v_or_b32_e32 v19, 0x100, v30
	flat_load_b64 v[6:7], v[6:7]
	s_waitcnt vmcnt(0) lgkmcnt(0)
	v_mad_u64_u32 v[28:29], null, 0xa8, v8, v[6:7]
	flat_load_b128 v[6:9], v[28:29] offset:96
	s_waitcnt vmcnt(0) lgkmcnt(0)
	v_cmp_eq_u64_e32 vcc_lo, 0, v[6:7]
	v_cndmask_b32_e32 v30, v19, v30, vcc_lo
	s_delay_alu instid0(VALU_DEP_1) | instskip(NEXT) | instid1(VALU_DEP_1)
	v_and_b32_e32 v19, 16, v30
	v_cmpx_ne_u32_e32 0, v19
; %bb.38:
	s_clause 0x2
	flat_load_b64 v[38:39], v[28:29] offset:120
	flat_load_b64 v[32:33], v[28:29] offset:48
	;; [unrolled: 1-line block ×3, first 2 shown]
; %bb.39:
	s_or_b32 exec_lo, exec_lo, s1
	v_and_b32_e32 v19, 8, v30
	s_mov_b32 s1, exec_lo
	s_delay_alu instid0(VALU_DEP_1)
	v_cmpx_ne_u32_e32 0, v19
	s_cbranch_execz .LBB6_44
; %bb.40:
	v_and_b32_e32 v19, 0x800, v30
	s_mov_b32 s2, exec_lo
	s_delay_alu instid0(VALU_DEP_1)
	v_cmpx_eq_u32_e32 0, v19
	s_cbranch_execz .LBB6_43
; %bb.41:
	s_cbranch_execnz .LBB6_1430
; %bb.42:
	ds_store_b64 v0, v[28:29]
.LBB6_43:
	s_or_b32 exec_lo, exec_lo, s2
	s_waitcnt vmcnt(1) lgkmcnt(1)
	flat_load_b64 v[32:33], v[28:29] offset:56
	s_waitcnt vmcnt(0) lgkmcnt(0)
	flat_load_b64 v[50:51], v[32:33] glc
	s_clause 0x1
	flat_load_b32 v86, v[28:29] offset:72
	flat_load_b64 v[36:37], v[28:29] offset:16
.LBB6_44:
	s_or_b32 exec_lo, exec_lo, s1
	v_add_co_u32 v8, vcc_lo, v8, 3
	v_add_co_ci_u32_e32 v35, vcc_lo, 0, v9, vcc_lo
	s_delay_alu instid0(VALU_DEP_2)
	v_and_b32_e32 v34, -4, v8
.LBB6_45:
	s_or_b32 exec_lo, exec_lo, s0
	v_cmp_eq_u32_e64 s0, 0, v0
	s_delay_alu instid0(VALU_DEP_1)
	s_and_saveexec_b32 s1, s0
	s_cbranch_execz .LBB6_48
; %bb.46:
	s_waitcnt lgkmcnt(0)
	flat_load_b64 v[8:9], v[2:3] offset:32
	ds_store_2addr_b64 v0, v[12:13], v[10:11] offset1:1
	s_cbranch_execnz .LBB6_1422
; %bb.47:
	s_waitcnt vmcnt(0) lgkmcnt(1)
	ds_store_b64 v0, v[8:9]
	ds_store_b64 v0, v[15:16]
.LBB6_48:
	s_or_b32 exec_lo, exec_lo, s1
	s_waitcnt vmcnt(0)
	v_dual_mov_b32 v48, 0 :: v_dual_and_b32 v87, 0xffff, v18
	v_mov_b32_e32 v49, 0
	s_mov_b32 s39, exec_lo
	v_cmpx_lt_i64_e32 0, v[4:5]
	s_cbranch_execz .LBB6_1396
; %bb.49:
	s_waitcnt lgkmcnt(0)
	flat_load_b32 v8, v[2:3] offset:4
	v_dual_mov_b32 v3, 0 :: v_dual_and_b32 v2, 31, v31
	s_ashr_i32 s21, s23, 31
	s_add_u32 s40, s23, -1
	s_addc_u32 s24, s21, -1
	s_not_b32 s2, s23
	v_cmp_ge_i32_e32 vcc_lo, v0, v1
	v_cmp_eq_u32_e64 s1, 0, v2
	s_cmp_gt_i32 s23, 0
	s_mov_b32 s41, 0
	s_cselect_b32 s6, s2, -1
	s_cbranch_execnz .LBB6_1424
; %bb.50:
	v_ashrrev_i32_e32 v9, 31, v0
	v_lshrrev_b32_e32 v97, 5, v1
	v_and_b32_e32 v2, 0x3ffffe00, v14
	s_add_i32 s42, s23, s23
	s_ashr_i32 s7, s5, 31
	v_lshrrev_b32_e32 v9, 27, v9
	v_lshlrev_b32_e32 v100, 9, v97
	v_dual_mov_b32 v144, 1 :: v_dual_and_b32 v115, 0xffffffe0, v1
	s_add_i32 s43, s6, s42
	s_delay_alu instid0(VALU_DEP_3) | instskip(NEXT) | instid1(VALU_DEP_3)
	v_dual_mov_b32 v54, 0 :: v_dual_add_nc_u32 v9, v0, v9
	v_dual_mov_b32 v55, 0 :: v_dual_add_nc_u32 v102, 0xfffffe00, v100
	s_delay_alu instid0(VALU_DEP_2) | instskip(NEXT) | instid1(VALU_DEP_3)
	v_mov_b32_e32 v48, v54
	v_dual_mov_b32 v65, v3 :: v_dual_and_b32 v10, 0xffffffe0, v9
	v_ashrrev_i32_e32 v98, 5, v9
	v_lshl_add_u32 v9, v97, 12, 0xfffff000
	s_lshr_b32 s6, s7, 25
	s_delay_alu instid0(VALU_DEP_3) | instskip(NEXT) | instid1(VALU_DEP_3)
	v_sub_nc_u32_e32 v99, v0, v10
	v_dual_mov_b32 v49, v55 :: v_dual_lshlrev_b32 v10, 12, v98
	s_delay_alu instid0(VALU_DEP_3) | instskip(SKIP_2) | instid1(VALU_DEP_4)
	v_add_co_u32 v112, s7, 0x1000, v9
	v_ashrrev_i32_e32 v114, 31, v102
	v_subrev_nc_u32_e32 v118, 32, v115
	v_lshl_add_u32 v101, v99, 4, v10
	v_ashrrev_i32_e32 v10, 31, v9
	v_lshl_add_u32 v9, v97, 10, 0xfffffc00
	s_waitcnt vmcnt(0) lgkmcnt(0)
	v_and_b32_e32 v8, 1, v8
	v_ashrrev_i32_e32 v129, 31, v118
	s_add_i32 s5, s5, s6
	v_add_co_ci_u32_e64 v113, s7, 0, v10, s7
	v_add_co_u32 v116, s7, 0x200, v102
	v_ashrrev_i32_e32 v10, 31, v9
	v_add_co_ci_u32_e64 v117, s7, 0, v114, s7
	v_add_co_u32 v119, s7, 0x400, v9
	s_delay_alu instid0(VALU_DEP_1) | instskip(SKIP_1) | instid1(VALU_DEP_1)
	v_add_co_ci_u32_e64 v128, s7, 0, v10, s7
	v_add_co_u32 v130, s7, v118, 32
	v_add_co_ci_u32_e64 v131, s7, 0, v129, s7
	v_cmp_eq_u32_e64 s7, 1, v8
	v_lshlrev_b32_e32 v8, 11, v98
	s_ashr_i32 s28, s43, 31
	s_ashr_i32 s29, s5, 7
	s_cmp_gt_i32 s23, 2
	v_mad_i64_i32 v[52:53], null, v2, s23, 0
	v_sub_nc_u32_e32 v132, v101, v8
	v_lshl_add_u32 v8, v97, 11, 0xfffff800
	s_cselect_b32 s44, -1, 0
	s_add_i32 s13, s23, 1
	s_xor_b32 s31, s7, -1
	s_cmp_le_i32 s23, s13
	v_ashrrev_i32_e32 v9, 31, v8
	s_cselect_b32 s14, s23, 0
	v_cmp_eq_u64_e64 s10, 0, v[38:39]
	s_sub_i32 s34, s13, s14
	v_add_co_u32 v134, s13, 0x800, v8
	v_cmp_ne_u64_e64 s11, 0, v[38:39]
	v_ashrrev_i32_e32 v96, 31, v86
	v_cmp_eq_u32_e64 s2, 32, v1
	v_cmp_ne_u32_e64 s3, 32, v1
	v_cmp_ne_u32_e64 s4, v87, v1
	v_cmp_gt_i32_e64 s5, 1, v99
	v_cmp_lt_i32_e64 s6, v99, v17
	v_ashrrev_i32_e32 v103, 31, v101
	v_cmp_le_i32_e64 s12, v99, v17
	v_ashrrev_i32_e32 v133, 31, v132
	v_add_co_ci_u32_e64 v135, s13, 0, v9, s13
	v_mov_b32_e32 v64, v2
	s_ashr_i32 s35, s34, 31
	s_add_i32 s36, s23, -2
	s_xor_b32 s37, vcc_lo, -1
	s_sub_i32 s38, 0, s23
.LBB6_51:                               ; =>This Loop Header: Depth=1
                                        ;     Child Loop BB6_59 Depth 2
                                        ;       Child Loop BB6_68 Depth 3
                                        ;       Child Loop BB6_95 Depth 3
                                        ;       Child Loop BB6_118 Depth 3
                                        ;       Child Loop BB6_141 Depth 3
                                        ;       Child Loop BB6_147 Depth 3
                                        ;       Child Loop BB6_157 Depth 3
                                        ;       Child Loop BB6_163 Depth 3
                                        ;       Child Loop BB6_175 Depth 3
                                        ;       Child Loop BB6_201 Depth 3
                                        ;     Child Loop BB6_222 Depth 2
                                        ;       Child Loop BB6_228 Depth 3
                                        ;       Child Loop BB6_255 Depth 3
	;; [unrolled: 1-line block ×3, first 2 shown]
                                        ;     Child Loop BB6_303 Depth 2
                                        ;       Child Loop BB6_305 Depth 3
                                        ;         Child Loop BB6_314 Depth 4
                                        ;         Child Loop BB6_346 Depth 4
	;; [unrolled: 1-line block ×9, first 2 shown]
                                        ;       Child Loop BB6_473 Depth 3
                                        ;         Child Loop BB6_479 Depth 4
                                        ;         Child Loop BB6_509 Depth 4
	;; [unrolled: 1-line block ×3, first 2 shown]
                                        ;     Child Loop BB6_558 Depth 2
                                        ;       Child Loop BB6_567 Depth 3
                                        ;       Child Loop BB6_599 Depth 3
	;; [unrolled: 1-line block ×5, first 2 shown]
                                        ;         Child Loop BB6_658 Depth 4
                                        ;       Child Loop BB6_670 Depth 3
                                        ;       Child Loop BB6_676 Depth 3
                                        ;         Child Loop BB6_677 Depth 4
                                        ;       Child Loop BB6_693 Depth 3
                                        ;       Child Loop BB6_699 Depth 3
	;; [unrolled: 1-line block ×6, first 2 shown]
                                        ;     Child Loop BB6_775 Depth 2
                                        ;       Child Loop BB6_781 Depth 3
                                        ;       Child Loop BB6_813 Depth 3
	;; [unrolled: 1-line block ×3, first 2 shown]
                                        ;     Child Loop BB6_861 Depth 2
                                        ;       Child Loop BB6_863 Depth 3
                                        ;         Child Loop BB6_872 Depth 4
                                        ;         Child Loop BB6_902 Depth 4
	;; [unrolled: 1-line block ×5, first 2 shown]
                                        ;           Child Loop BB6_957 Depth 5
                                        ;         Child Loop BB6_968 Depth 4
                                        ;         Child Loop BB6_974 Depth 4
                                        ;           Child Loop BB6_975 Depth 5
                                        ;         Child Loop BB6_989 Depth 4
                                        ;         Child Loop BB6_995 Depth 4
	;; [unrolled: 1-line block ×6, first 2 shown]
                                        ;       Child Loop BB6_1070 Depth 3
                                        ;         Child Loop BB6_1076 Depth 4
                                        ;         Child Loop BB6_1106 Depth 4
	;; [unrolled: 1-line block ×3, first 2 shown]
                                        ;     Child Loop BB6_1156 Depth 2
                                        ;       Child Loop BB6_1165 Depth 3
                                        ;       Child Loop BB6_1192 Depth 3
	;; [unrolled: 1-line block ×9, first 2 shown]
                                        ;     Child Loop BB6_1317 Depth 2
                                        ;       Child Loop BB6_1323 Depth 3
                                        ;       Child Loop BB6_1350 Depth 3
	;; [unrolled: 1-line block ×3, first 2 shown]
	v_sub_co_u32 v66, vcc_lo, v4, v54
	v_sub_co_ci_u32_e32 v67, vcc_lo, v5, v55, vcc_lo
	s_mov_b32 s18, exec_lo
	s_delay_alu instid0(VALU_DEP_1)
	v_cmpx_lt_i64_e64 v[66:67], v[52:53]
	s_cbranch_execz .LBB6_57
; %bb.52:                               ;   in Loop: Header=BB6_51 Depth=1
	v_add_co_u32 v2, vcc_lo, s40, v66
	v_add_co_ci_u32_e32 v10, vcc_lo, s24, v67, vcc_lo
	v_mov_b32_e32 v8, v3
	s_delay_alu instid0(VALU_DEP_2) | instskip(NEXT) | instid1(VALU_DEP_1)
	v_or_b32_e32 v9, s21, v10
	v_cmp_ne_u64_e32 vcc_lo, 0, v[8:9]
                                        ; implicit-def: $vgpr8_vgpr9
	s_and_saveexec_b32 s13, vcc_lo
	s_delay_alu instid0(SALU_CYCLE_1)
	s_xor_b32 s19, exec_lo, s13
	s_cbranch_execz .LBB6_54
; %bb.53:                               ;   in Loop: Header=BB6_51 Depth=1
	s_add_u32 s16, s23, s21
	s_mov_b32 s14, s21
	s_mov_b32 s15, s21
	s_addc_u32 s17, s21, s21
	s_delay_alu instid0(SALU_CYCLE_1) | instskip(NEXT) | instid1(SALU_CYCLE_1)
	s_xor_b64 s[16:17], s[16:17], s[14:15]
	v_cvt_f32_u32_e32 v8, s16
	v_cvt_f32_u32_e32 v9, s17
	s_sub_u32 s13, 0, s16
	s_subb_u32 s20, 0, s17
	s_delay_alu instid0(VALU_DEP_1) | instskip(NEXT) | instid1(VALU_DEP_1)
	v_fmac_f32_e32 v8, 0x4f800000, v9
	v_rcp_f32_e32 v8, v8
	s_waitcnt_depctr 0xfff
	v_mul_f32_e32 v8, 0x5f7ffffc, v8
	s_delay_alu instid0(VALU_DEP_1) | instskip(NEXT) | instid1(VALU_DEP_1)
	v_mul_f32_e32 v9, 0x2f800000, v8
	v_trunc_f32_e32 v9, v9
	s_delay_alu instid0(VALU_DEP_1) | instskip(SKIP_1) | instid1(VALU_DEP_2)
	v_fmac_f32_e32 v8, 0xcf800000, v9
	v_cvt_u32_f32_e32 v9, v9
	v_cvt_u32_f32_e32 v8, v8
	s_delay_alu instid0(VALU_DEP_2) | instskip(NEXT) | instid1(VALU_DEP_2)
	v_mul_lo_u32 v11, s13, v9
	v_mul_hi_u32 v12, s13, v8
	v_mul_lo_u32 v13, s20, v8
	s_delay_alu instid0(VALU_DEP_2) | instskip(SKIP_1) | instid1(VALU_DEP_2)
	v_add_nc_u32_e32 v11, v12, v11
	v_mul_lo_u32 v12, s13, v8
	v_add_nc_u32_e32 v11, v11, v13
	s_delay_alu instid0(VALU_DEP_2) | instskip(NEXT) | instid1(VALU_DEP_2)
	v_mul_hi_u32 v13, v8, v12
	v_mul_lo_u32 v14, v8, v11
	v_mul_hi_u32 v15, v8, v11
	v_mul_hi_u32 v16, v9, v12
	v_mul_lo_u32 v12, v9, v12
	v_mul_hi_u32 v17, v9, v11
	v_mul_lo_u32 v11, v9, v11
	v_add_co_u32 v13, vcc_lo, v13, v14
	v_add_co_ci_u32_e32 v14, vcc_lo, 0, v15, vcc_lo
	s_delay_alu instid0(VALU_DEP_2) | instskip(NEXT) | instid1(VALU_DEP_2)
	v_add_co_u32 v12, vcc_lo, v13, v12
	v_add_co_ci_u32_e32 v12, vcc_lo, v14, v16, vcc_lo
	v_add_co_ci_u32_e32 v13, vcc_lo, 0, v17, vcc_lo
	v_ashrrev_i32_e32 v16, 31, v10
	s_delay_alu instid0(VALU_DEP_3) | instskip(NEXT) | instid1(VALU_DEP_3)
	v_add_co_u32 v11, vcc_lo, v12, v11
	v_add_co_ci_u32_e32 v12, vcc_lo, 0, v13, vcc_lo
	s_delay_alu instid0(VALU_DEP_2) | instskip(NEXT) | instid1(VALU_DEP_2)
	v_add_co_u32 v8, vcc_lo, v8, v11
	v_add_co_ci_u32_e32 v9, vcc_lo, v9, v12, vcc_lo
	s_delay_alu instid0(VALU_DEP_2) | instskip(SKIP_1) | instid1(VALU_DEP_3)
	v_mul_hi_u32 v11, s13, v8
	v_mul_lo_u32 v13, s20, v8
	v_mul_lo_u32 v12, s13, v9
	s_delay_alu instid0(VALU_DEP_1) | instskip(SKIP_1) | instid1(VALU_DEP_2)
	v_add_nc_u32_e32 v11, v11, v12
	v_mul_lo_u32 v12, s13, v8
	v_add_nc_u32_e32 v11, v11, v13
	s_delay_alu instid0(VALU_DEP_2) | instskip(NEXT) | instid1(VALU_DEP_2)
	v_mul_hi_u32 v13, v8, v12
	v_mul_lo_u32 v14, v8, v11
	v_mul_hi_u32 v15, v8, v11
	v_mul_hi_u32 v17, v9, v12
	v_mul_lo_u32 v12, v9, v12
	v_mul_hi_u32 v18, v9, v11
	v_mul_lo_u32 v11, v9, v11
	v_add_co_u32 v13, vcc_lo, v13, v14
	v_add_co_ci_u32_e32 v14, vcc_lo, 0, v15, vcc_lo
	s_delay_alu instid0(VALU_DEP_2) | instskip(NEXT) | instid1(VALU_DEP_2)
	v_add_co_u32 v12, vcc_lo, v13, v12
	v_add_co_ci_u32_e32 v12, vcc_lo, v14, v17, vcc_lo
	v_add_co_ci_u32_e32 v13, vcc_lo, 0, v18, vcc_lo
	v_add_co_u32 v2, vcc_lo, v2, v16
	v_add_co_ci_u32_e32 v10, vcc_lo, v10, v16, vcc_lo
	s_delay_alu instid0(VALU_DEP_4) | instskip(NEXT) | instid1(VALU_DEP_4)
	v_add_co_u32 v11, vcc_lo, v12, v11
	v_add_co_ci_u32_e32 v12, vcc_lo, 0, v13, vcc_lo
	s_delay_alu instid0(VALU_DEP_4) | instskip(NEXT) | instid1(VALU_DEP_3)
	v_xor_b32_e32 v2, v2, v16
	v_add_co_u32 v13, vcc_lo, v8, v11
	s_delay_alu instid0(VALU_DEP_3) | instskip(SKIP_1) | instid1(VALU_DEP_3)
	v_add_co_ci_u32_e32 v14, vcc_lo, v9, v12, vcc_lo
	v_xor_b32_e32 v15, v10, v16
	v_mul_hi_u32 v17, v2, v13
	s_delay_alu instid0(VALU_DEP_3) | instskip(NEXT) | instid1(VALU_DEP_3)
	v_mad_u64_u32 v[8:9], null, v2, v14, 0
	v_mad_u64_u32 v[10:11], null, v15, v13, 0
	v_mad_u64_u32 v[12:13], null, v15, v14, 0
	s_delay_alu instid0(VALU_DEP_3) | instskip(NEXT) | instid1(VALU_DEP_4)
	v_add_co_u32 v8, vcc_lo, v17, v8
	v_add_co_ci_u32_e32 v9, vcc_lo, 0, v9, vcc_lo
	s_delay_alu instid0(VALU_DEP_2) | instskip(NEXT) | instid1(VALU_DEP_2)
	v_add_co_u32 v8, vcc_lo, v8, v10
	v_add_co_ci_u32_e32 v8, vcc_lo, v9, v11, vcc_lo
	v_add_co_ci_u32_e32 v9, vcc_lo, 0, v13, vcc_lo
	s_delay_alu instid0(VALU_DEP_2) | instskip(NEXT) | instid1(VALU_DEP_2)
	v_add_co_u32 v10, vcc_lo, v8, v12
	v_add_co_ci_u32_e32 v11, vcc_lo, 0, v9, vcc_lo
	s_delay_alu instid0(VALU_DEP_2) | instskip(SKIP_1) | instid1(VALU_DEP_3)
	v_mul_lo_u32 v12, s17, v10
	v_mad_u64_u32 v[8:9], null, s16, v10, 0
	v_mul_lo_u32 v13, s16, v11
	s_delay_alu instid0(VALU_DEP_2) | instskip(NEXT) | instid1(VALU_DEP_2)
	v_sub_co_u32 v2, vcc_lo, v2, v8
	v_add3_u32 v9, v9, v13, v12
	s_delay_alu instid0(VALU_DEP_1) | instskip(NEXT) | instid1(VALU_DEP_1)
	v_sub_nc_u32_e32 v12, v15, v9
	v_subrev_co_ci_u32_e64 v8, s13, s17, v12, vcc_lo
	v_add_co_u32 v12, s13, v10, 2
	s_delay_alu instid0(VALU_DEP_1) | instskip(SKIP_3) | instid1(VALU_DEP_3)
	v_add_co_ci_u32_e64 v13, s13, 0, v11, s13
	v_sub_co_u32 v14, s13, v2, s16
	v_sub_co_ci_u32_e32 v9, vcc_lo, v15, v9, vcc_lo
	v_subrev_co_ci_u32_e64 v8, s13, 0, v8, s13
	v_cmp_le_u32_e32 vcc_lo, s16, v14
	s_delay_alu instid0(VALU_DEP_3) | instskip(SKIP_1) | instid1(VALU_DEP_4)
	v_cmp_eq_u32_e64 s13, s17, v9
	v_cndmask_b32_e64 v14, 0, -1, vcc_lo
	v_cmp_le_u32_e32 vcc_lo, s17, v8
	v_cndmask_b32_e64 v15, 0, -1, vcc_lo
	v_cmp_le_u32_e32 vcc_lo, s16, v2
	v_cndmask_b32_e64 v2, 0, -1, vcc_lo
	v_cmp_le_u32_e32 vcc_lo, s17, v9
	v_cndmask_b32_e64 v17, 0, -1, vcc_lo
	v_cmp_eq_u32_e32 vcc_lo, s17, v8
	s_delay_alu instid0(VALU_DEP_2) | instskip(SKIP_3) | instid1(VALU_DEP_3)
	v_cndmask_b32_e64 v2, v17, v2, s13
	v_cndmask_b32_e32 v8, v15, v14, vcc_lo
	v_add_co_u32 v14, vcc_lo, v10, 1
	v_add_co_ci_u32_e32 v15, vcc_lo, 0, v11, vcc_lo
	v_cmp_ne_u32_e32 vcc_lo, 0, v8
	s_delay_alu instid0(VALU_DEP_2) | instskip(SKIP_2) | instid1(VALU_DEP_3)
	v_dual_cndmask_b32 v8, v15, v13 :: v_dual_cndmask_b32 v9, v14, v12
	v_cmp_ne_u32_e32 vcc_lo, 0, v2
	v_xor_b32_e32 v2, s14, v16
	v_dual_cndmask_b32 v8, v11, v8 :: v_dual_cndmask_b32 v9, v10, v9
	v_xor_b32_e32 v10, s15, v16
	s_delay_alu instid0(VALU_DEP_2) | instskip(NEXT) | instid1(VALU_DEP_2)
	v_xor_b32_e32 v9, v9, v2
	v_xor_b32_e32 v11, v8, v10
	s_delay_alu instid0(VALU_DEP_2) | instskip(NEXT) | instid1(VALU_DEP_2)
	v_sub_co_u32 v8, vcc_lo, v9, v2
	v_sub_co_ci_u32_e32 v9, vcc_lo, v11, v10, vcc_lo
                                        ; implicit-def: $vgpr2
.LBB6_54:                               ;   in Loop: Header=BB6_51 Depth=1
	s_and_not1_saveexec_b32 s13, s19
	s_cbranch_execz .LBB6_56
; %bb.55:                               ;   in Loop: Header=BB6_51 Depth=1
	v_cvt_f32_u32_e32 v8, s23
	s_delay_alu instid0(VALU_DEP_1) | instskip(SKIP_2) | instid1(VALU_DEP_1)
	v_rcp_iflag_f32_e32 v8, v8
	s_waitcnt_depctr 0xfff
	v_mul_f32_e32 v8, 0x4f7ffffe, v8
	v_cvt_u32_f32_e32 v8, v8
	s_delay_alu instid0(VALU_DEP_1) | instskip(NEXT) | instid1(VALU_DEP_1)
	v_mul_lo_u32 v9, s38, v8
	v_mul_hi_u32 v9, v8, v9
	s_delay_alu instid0(VALU_DEP_1) | instskip(NEXT) | instid1(VALU_DEP_1)
	v_add_nc_u32_e32 v8, v8, v9
	v_mul_hi_u32 v8, v2, v8
	s_delay_alu instid0(VALU_DEP_1) | instskip(NEXT) | instid1(VALU_DEP_1)
	v_mul_lo_u32 v9, v8, s23
	v_sub_nc_u32_e32 v2, v2, v9
	s_delay_alu instid0(VALU_DEP_1) | instskip(SKIP_1) | instid1(VALU_DEP_2)
	v_subrev_nc_u32_e32 v10, s23, v2
	v_cmp_le_u32_e32 vcc_lo, s23, v2
	v_dual_cndmask_b32 v2, v2, v10 :: v_dual_add_nc_u32 v9, 1, v8
	s_delay_alu instid0(VALU_DEP_1) | instskip(NEXT) | instid1(VALU_DEP_2)
	v_cndmask_b32_e32 v8, v8, v9, vcc_lo
	v_cmp_le_u32_e32 vcc_lo, s23, v2
	s_delay_alu instid0(VALU_DEP_2) | instskip(NEXT) | instid1(VALU_DEP_1)
	v_add_nc_u32_e32 v9, 1, v8
	v_cndmask_b32_e32 v2, v8, v9, vcc_lo
	s_delay_alu instid0(VALU_DEP_1)
	v_dual_mov_b32 v9, v3 :: v_dual_mov_b32 v8, v2
.LBB6_56:                               ;   in Loop: Header=BB6_51 Depth=1
	s_or_b32 exec_lo, exec_lo, s13
	s_delay_alu instid0(VALU_DEP_1) | instskip(NEXT) | instid1(VALU_DEP_2)
	v_add_co_u32 v2, vcc_lo, v8, 15
	v_add_co_ci_u32_e32 v65, vcc_lo, 0, v9, vcc_lo
	s_delay_alu instid0(VALU_DEP_2)
	v_and_b32_e32 v64, -16, v2
.LBB6_57:                               ;   in Loop: Header=BB6_51 Depth=1
	s_or_b32 exec_lo, exec_lo, s18
	s_delay_alu instid0(VALU_DEP_2) | instskip(NEXT) | instid1(VALU_DEP_2)
	v_mul_lo_u32 v2, v65, s43
	v_mul_lo_u32 v8, v64, s28
	v_mad_u64_u32 v[10:11], null, v64, s43, 0
	s_mov_b32 s16, 0
	v_mov_b32_e32 v17, 0
	s_delay_alu instid0(VALU_DEP_2) | instskip(NEXT) | instid1(VALU_DEP_3)
	v_add3_u32 v11, v11, v8, v2
	v_sub_co_u32 v8, vcc_lo, v66, v10
	s_delay_alu instid0(VALU_DEP_2) | instskip(NEXT) | instid1(VALU_DEP_1)
	v_sub_co_ci_u32_e32 v9, vcc_lo, v67, v11, vcc_lo
	v_cmp_lt_i64_e32 vcc_lo, v[64:65], v[8:9]
	v_cndmask_b32_e32 v8, v8, v64, vcc_lo
	v_add_co_u32 v145, vcc_lo, v54, v24
	v_add_co_ci_u32_e32 v146, vcc_lo, v55, v25, vcc_lo
	s_delay_alu instid0(VALU_DEP_3) | instskip(NEXT) | instid1(VALU_DEP_1)
	v_max_i32_e32 v16, 0, v8
	v_add_nc_u32_e32 v2, 31, v16
	s_delay_alu instid0(VALU_DEP_1) | instskip(NEXT) | instid1(VALU_DEP_1)
	v_lshrrev_b32_e32 v2, 1, v2
	v_and_b32_e32 v9, 0x3ffffff0, v2
	v_cmp_lt_i32_e32 vcc_lo, 0, v8
	v_mov_b32_e32 v2, 0
	s_delay_alu instid0(VALU_DEP_3) | instskip(SKIP_1) | instid1(SALU_CYCLE_1)
	v_max_i32_e32 v8, s29, v9
	s_and_b32 s13, s37, vcc_lo
	s_and_saveexec_b32 s15, s13
	s_cbranch_execz .LBB6_220
; %bb.58:                               ;   in Loop: Header=BB6_51 Depth=1
	v_mov_b32_e32 v17, 0
	s_mov_b32 s18, 1
	s_mov_b32 s17, -1
.LBB6_59:                               ;   Parent Loop BB6_51 Depth=1
                                        ; =>  This Loop Header: Depth=2
                                        ;       Child Loop BB6_68 Depth 3
                                        ;       Child Loop BB6_95 Depth 3
	;; [unrolled: 1-line block ×9, first 2 shown]
	s_and_saveexec_b32 s13, s0
	s_cbranch_execz .LBB6_62
; %bb.60:                               ;   in Loop: Header=BB6_59 Depth=2
	s_cbranch_execnz .LBB6_1447
; %bb.61:                               ;   in Loop: Header=BB6_59 Depth=2
	ds_load_b64 v[12:13], v0
	s_waitcnt lgkmcnt(0)
	v_add_co_u32 v2, vcc_lo, v12, v145
	v_add_co_ci_u32_e32 v9, vcc_lo, v13, v146, vcc_lo
	v_ashrrev_i32_e32 v13, 31, v17
	s_delay_alu instid0(VALU_DEP_3) | instskip(NEXT) | instid1(VALU_DEP_3)
	v_add_co_u32 v2, vcc_lo, v2, v10
	v_add_co_ci_u32_e32 v9, vcc_lo, v9, v11, vcc_lo
	s_delay_alu instid0(VALU_DEP_2) | instskip(NEXT) | instid1(VALU_DEP_2)
	v_add_co_u32 v12, vcc_lo, v2, v17
	v_add_co_ci_u32_e32 v13, vcc_lo, v9, v13, vcc_lo
	v_mov_b32_e32 v2, v3
	ds_store_b64 v0, v[12:13]
	ds_store_b64 v0, v[2:3]
.LBB6_62:                               ;   in Loop: Header=BB6_59 Depth=2
	s_or_b32 exec_lo, exec_lo, s13
	v_and_b32_e32 v2, 8, v30
	s_mov_b32 s14, -1
	s_mov_b32 s13, exec_lo
	s_delay_alu instid0(VALU_DEP_1)
	v_cmpx_ne_u32_e32 0, v2
	s_cbranch_execz .LBB6_76
; %bb.63:                               ;   in Loop: Header=BB6_59 Depth=2
	v_add_co_u32 v14, vcc_lo, v50, 8
	v_add_co_ci_u32_e32 v15, vcc_lo, 0, v51, vcc_lo
	v_add_co_u32 v12, vcc_lo, v34, 2
	v_add_co_ci_u32_e32 v13, vcc_lo, 0, v35, vcc_lo
	v_mov_b32_e32 v2, 1
	s_mov_b32 s14, exec_lo
	s_delay_alu instid0(VALU_DEP_2)
	v_cmpx_lt_u64_e64 v[14:15], v[12:13]
	s_cbranch_execz .LBB6_75
; %bb.64:                               ;   in Loop: Header=BB6_59 Depth=2
	v_mov_b32_e32 v2, 0
	s_mov_b32 s19, 0
                                        ; implicit-def: $sgpr20
	s_branch .LBB6_68
.LBB6_65:                               ;   in Loop: Header=BB6_68 Depth=3
	s_or_b32 exec_lo, exec_lo, s27
	v_mov_b32_e32 v9, 0
	s_or_not1_b32 s26, s26, exec_lo
.LBB6_66:                               ;   in Loop: Header=BB6_68 Depth=3
	s_or_b32 exec_lo, exec_lo, s25
	s_delay_alu instid0(VALU_DEP_1) | instskip(SKIP_2) | instid1(SALU_CYCLE_1)
	v_mov_b32_e32 v2, v9
	s_and_not1_b32 s20, s20, exec_lo
	s_and_b32 s25, s26, exec_lo
	s_or_b32 s20, s20, s25
.LBB6_67:                               ;   in Loop: Header=BB6_68 Depth=3
	s_or_b32 exec_lo, exec_lo, s22
	s_waitcnt vmcnt(0) lgkmcnt(0)
	v_add_co_u32 v14, vcc_lo, v50, 8
	v_add_co_ci_u32_e32 v15, vcc_lo, 0, v51, vcc_lo
	s_xor_b32 s22, s20, -1
	s_delay_alu instid0(VALU_DEP_1) | instskip(SKIP_1) | instid1(SALU_CYCLE_1)
	v_cmp_ge_u64_e32 vcc_lo, v[14:15], v[12:13]
	s_or_b32 s22, s22, vcc_lo
	s_and_b32 s22, exec_lo, s22
	s_delay_alu instid0(SALU_CYCLE_1) | instskip(NEXT) | instid1(SALU_CYCLE_1)
	s_or_b32 s19, s22, s19
	s_and_not1_b32 exec_lo, exec_lo, s19
	s_cbranch_execz .LBB6_74
.LBB6_68:                               ;   Parent Loop BB6_51 Depth=1
                                        ;     Parent Loop BB6_59 Depth=2
                                        ; =>    This Inner Loop Header: Depth=3
	s_sleep 1
	flat_load_b64 v[50:51], v[32:33] glc
	v_and_b32_e32 v9, 64, v30
	s_and_not1_b32 s20, s20, exec_lo
	s_mov_b32 s22, exec_lo
	s_delay_alu instid0(VALU_DEP_1)
	v_cmpx_eq_u32_e32 0, v9
	s_cbranch_execz .LBB6_67
; %bb.69:                               ;   in Loop: Header=BB6_68 Depth=3
	v_add_nc_u32_e32 v9, 1, v2
	s_mov_b32 s26, -1
	s_mov_b32 s25, exec_lo
	v_cmpx_lt_i32_e32 0x270e, v2
	s_cbranch_execz .LBB6_66
; %bb.70:                               ;   in Loop: Header=BB6_68 Depth=3
	s_cbranch_execnz .LBB6_1469
; %bb.71:                               ;   in Loop: Header=BB6_68 Depth=3
	ds_load_b64 v[14:15], v0
	s_mov_b32 s27, exec_lo
	s_waitcnt vmcnt(0) lgkmcnt(0)
	s_waitcnt_vscnt null, 0x0
	flat_load_b32 v2, v[14:15] glc
	s_waitcnt vmcnt(0) lgkmcnt(0)
	buffer_gl1_inv
	buffer_gl0_inv
	v_cmpx_ne_u32_e32 0, v2
	s_cbranch_execz .LBB6_65
; %bb.72:                               ;   in Loop: Header=BB6_68 Depth=3
	ds_store_b32 v0, v2
	s_cbranch_execnz .LBB6_1488
; %bb.73:                               ;   in Loop: Header=BB6_68 Depth=3
	v_or_b32_e32 v30, 64, v30
	s_xor_b32 s26, exec_lo, -1
	s_branch .LBB6_65
.LBB6_74:                               ;   in Loop: Header=BB6_59 Depth=2
	s_or_b32 exec_lo, exec_lo, s19
	v_and_b32_e32 v2, 8, v30
.LBB6_75:                               ;   in Loop: Header=BB6_59 Depth=2
	s_or_b32 exec_lo, exec_lo, s14
	s_delay_alu instid0(VALU_DEP_1)
	v_cmp_eq_u32_e32 vcc_lo, 0, v2
	;;#ASMSTART
	s_wakeup
	;;#ASMEND
	s_or_not1_b32 s14, vcc_lo, exec_lo
.LBB6_76:                               ;   in Loop: Header=BB6_59 Depth=2
	s_or_b32 exec_lo, exec_lo, s13
	v_sub_nc_u32_e32 v2, v16, v17
	s_xor_b32 s13, s14, -1
	s_delay_alu instid0(VALU_DEP_1)
	v_min_i32_e32 v8, v8, v2
	s_and_saveexec_b32 s14, s13
	s_cbranch_execz .LBB6_86
; %bb.77:                               ;   in Loop: Header=BB6_59 Depth=2
	v_and_b32_e32 v2, 0x100, v30
	s_mov_b32 s13, -1
                                        ; implicit-def: $vgpr12_vgpr13
	s_delay_alu instid0(VALU_DEP_1)
	v_cmp_ne_u32_e32 vcc_lo, 0, v2
	v_and_b32_e32 v2, 7, v34
	s_and_saveexec_b32 s19, vcc_lo
	s_cbranch_execz .LBB6_81
; %bb.78:                               ;   in Loop: Header=BB6_59 Depth=2
	s_delay_alu instid0(VALU_DEP_1)
	v_mad_u64_u32 v[14:15], null, v2, 24, v[6:7]
	v_ashrrev_i32_e32 v9, 31, v8
	flat_load_b32 v12, v[14:15]
	flat_store_b64 v[14:15], v[8:9] offset:8
	s_waitcnt vmcnt(0) lgkmcnt(1)
	v_cmp_ne_u32_e32 vcc_lo, 1, v12
	v_cmp_eq_u32_e64 s13, 1, v12
                                        ; implicit-def: $vgpr12_vgpr13
	s_delay_alu instid0(VALU_DEP_1)
	s_and_saveexec_b32 s20, s13
	s_cbranch_execz .LBB6_80
; %bb.79:                               ;   in Loop: Header=BB6_59 Depth=2
	flat_load_b32 v12, v[14:15] offset:4 glc
	s_waitcnt vmcnt(0) lgkmcnt(0)
	v_ashrrev_i32_e32 v13, 31, v12
.LBB6_80:                               ;   in Loop: Header=BB6_59 Depth=2
	s_or_b32 exec_lo, exec_lo, s20
	s_delay_alu instid0(SALU_CYCLE_1)
	s_or_not1_b32 s13, vcc_lo, exec_lo
.LBB6_81:                               ;   in Loop: Header=BB6_59 Depth=2
	s_or_b32 exec_lo, exec_lo, s19
	s_and_saveexec_b32 s19, s13
; %bb.82:                               ;   in Loop: Header=BB6_59 Depth=2
	v_mad_i64_i32 v[12:13], null, v2, v86, 0
; %bb.83:                               ;   in Loop: Header=BB6_59 Depth=2
	s_or_b32 exec_lo, exec_lo, s19
	s_delay_alu instid0(VALU_DEP_1) | instskip(SKIP_1) | instid1(VALU_DEP_3)
	v_add_co_u32 v12, vcc_lo, v36, v12
	v_and_b32_e32 v2, 0x2000, v30
	v_add_co_ci_u32_e32 v13, vcc_lo, v37, v13, vcc_lo
	s_mov_b32 s13, exec_lo
	ds_store_b64 v0, v[12:13] offset:784
	v_cmpx_ne_u32_e32 0, v2
	s_cbranch_execz .LBB6_85
; %bb.84:                               ;   in Loop: Header=BB6_59 Depth=2
	ds_load_b64 v[12:13], v0 offset:584
	s_waitcnt lgkmcnt(0)
	v_add_co_u32 v12, vcc_lo, v12, 1
	v_add_co_ci_u32_e32 v13, vcc_lo, 0, v13, vcc_lo
	ds_store_b64 v0, v[12:13] offset:584
.LBB6_85:                               ;   in Loop: Header=BB6_59 Depth=2
	s_or_b32 exec_lo, exec_lo, s13
	v_add_co_u32 v34, vcc_lo, v34, 2
	v_add_co_ci_u32_e32 v35, vcc_lo, 0, v35, vcc_lo
.LBB6_86:                               ;   in Loop: Header=BB6_59 Depth=2
	s_or_b32 exec_lo, exec_lo, s14
	s_and_saveexec_b32 s13, s3
	s_cbranch_execz .LBB6_108
; %bb.87:                               ;   in Loop: Header=BB6_59 Depth=2
	s_and_saveexec_b32 s14, s4
	s_delay_alu instid0(SALU_CYCLE_1)
	s_xor_b32 s14, exec_lo, s14
	s_cbranch_execz .LBB6_105
; %bb.88:                               ;   in Loop: Header=BB6_59 Depth=2
	s_and_saveexec_b32 s19, s1
	s_cbranch_execz .LBB6_104
; %bb.89:                               ;   in Loop: Header=BB6_59 Depth=2
	s_mov_b32 s22, exec_lo
	s_mov_b32 s20, exec_lo
	v_mbcnt_lo_u32_b32 v2, s22, 0
	s_waitcnt lgkmcnt(0)
	s_waitcnt_vscnt null, 0x0
	buffer_gl1_inv
	buffer_gl0_inv
	v_cmpx_eq_u32_e32 0, v2
	s_cbranch_execz .LBB6_91
; %bb.90:                               ;   in Loop: Header=BB6_59 Depth=2
	s_bcnt1_i32_b32 s22, s22
	s_delay_alu instid0(SALU_CYCLE_1)
	v_mov_b32_e32 v2, s22
	ds_add_u64 v0, v[2:3]
	s_cbranch_execnz .LBB6_1514
.LBB6_91:                               ;   in Loop: Header=BB6_59 Depth=2
	s_or_b32 exec_lo, exec_lo, s20
	s_cbranch_execnz .LBB6_1494
; %bb.92:                               ;   in Loop: Header=BB6_59 Depth=2
	ds_load_b64 v[12:13], v0
	v_add_co_u32 v48, vcc_lo, v48, v97
	v_add_co_ci_u32_e32 v49, vcc_lo, 0, v49, vcc_lo
	s_mov_b32 s20, exec_lo
	s_waitcnt lgkmcnt(0)
	s_delay_alu instid0(VALU_DEP_1)
	v_cmpx_lt_u64_e64 v[12:13], v[48:49]
	s_cbranch_execz .LBB6_103
; %bb.93:                               ;   in Loop: Header=BB6_59 Depth=2
	s_mov_b32 s22, 0
	s_mov_b32 s27, 0
                                        ; implicit-def: $sgpr25
                                        ; implicit-def: $sgpr26
	s_branch .LBB6_95
.LBB6_94:                               ;   in Loop: Header=BB6_95 Depth=3
	s_or_b32 exec_lo, exec_lo, s45
	s_delay_alu instid0(SALU_CYCLE_1) | instskip(NEXT) | instid1(SALU_CYCLE_1)
	s_and_b32 vcc_lo, exec_lo, vcc_lo
	s_or_b32 s22, vcc_lo, s22
	s_and_not1_b32 s25, s25, exec_lo
	s_and_b32 vcc_lo, s26, exec_lo
	s_delay_alu instid0(SALU_CYCLE_1)
	s_or_b32 s25, s25, vcc_lo
	s_and_not1_b32 exec_lo, exec_lo, s22
	s_cbranch_execz .LBB6_101
.LBB6_95:                               ;   Parent Loop BB6_51 Depth=1
                                        ;     Parent Loop BB6_59 Depth=2
                                        ; =>    This Inner Loop Header: Depth=3
	s_add_i32 s27, s27, 1
                                        ; implicit-def: $sgpr45
	s_delay_alu instid0(SALU_CYCLE_1) | instskip(SKIP_1) | instid1(SALU_CYCLE_1)
	s_cmpk_lg_i32 s27, 0x2710
	s_cselect_b32 vcc_hi, -1, 0
	s_and_b32 vcc_lo, exec_lo, vcc_hi
	s_cbranch_vccz .LBB6_99
.LBB6_96:                               ;   in Loop: Header=BB6_95 Depth=3
	s_and_not1_b32 s26, s26, exec_lo
	s_and_b32 s45, s45, exec_lo
	s_mov_b32 vcc_lo, -1
	s_or_b32 s26, s26, s45
	s_and_saveexec_b32 s45, vcc_hi
	s_cbranch_execz .LBB6_94
; %bb.97:                               ;   in Loop: Header=BB6_95 Depth=3
	s_sleep 1
	s_cbranch_execnz .LBB6_1542
; %bb.98:                               ;   in Loop: Header=BB6_95 Depth=3
	ds_load_b64 v[12:13], v0
	s_and_not1_b32 s26, s26, exec_lo
	s_waitcnt lgkmcnt(0)
	v_cmp_ge_u64_e32 vcc_lo, v[12:13], v[48:49]
	s_or_not1_b32 vcc_lo, vcc_lo, exec_lo
	s_branch .LBB6_94
.LBB6_99:                               ;   in Loop: Header=BB6_95 Depth=3
	s_cbranch_execnz .LBB6_1548
; %bb.100:                              ;   in Loop: Header=BB6_95 Depth=3
	ds_load_b64 v[12:13], v0
	s_mov_b32 s27, 0
	s_mov_b32 s45, -1
	s_waitcnt lgkmcnt(0)
	flat_load_b32 v2, v[12:13] glc
	s_waitcnt vmcnt(0) lgkmcnt(0)
	buffer_gl1_inv
	buffer_gl0_inv
	v_cmp_eq_u32_e32 vcc_lo, 0, v2
	s_and_not1_b32 vcc_hi, vcc_hi, exec_lo
	s_and_b32 vcc_lo, vcc_lo, exec_lo
	s_delay_alu instid0(SALU_CYCLE_1)
	s_or_b32 vcc_hi, vcc_hi, vcc_lo
	s_branch .LBB6_96
.LBB6_101:                              ;   in Loop: Header=BB6_59 Depth=2
	s_or_b32 exec_lo, exec_lo, s22
	s_and_saveexec_b32 s22, s25
	s_delay_alu instid0(SALU_CYCLE_1)
	s_xor_b32 s22, exec_lo, s22
	s_cbranch_execz .LBB6_103
; %bb.102:                              ;   in Loop: Header=BB6_59 Depth=2
	ds_store_b32 v0, v144
	s_cbranch_execnz .LBB6_1762
.LBB6_103:                              ;   in Loop: Header=BB6_59 Depth=2
	s_or_b32 exec_lo, exec_lo, s20
	;;#ASMSTART
	s_wakeup
	;;#ASMEND
.LBB6_104:                              ;   in Loop: Header=BB6_59 Depth=2
	s_or_b32 exec_lo, exec_lo, s19
.LBB6_105:                              ;   in Loop: Header=BB6_59 Depth=2
	s_and_not1_saveexec_b32 s14, s14
	s_cbranch_execz .LBB6_107
; %bb.106:                              ;   in Loop: Header=BB6_59 Depth=2
	s_waitcnt lgkmcnt(0)
	s_waitcnt_vscnt null, 0x0
	buffer_gl1_inv
	buffer_gl0_inv
	s_barrier
.LBB6_107:                              ;   in Loop: Header=BB6_59 Depth=2
	s_or_b32 exec_lo, exec_lo, s14
.LBB6_108:                              ;   in Loop: Header=BB6_59 Depth=2
	s_delay_alu instid0(SALU_CYCLE_1)
	s_or_b32 exec_lo, exec_lo, s13
	s_cbranch_execnz .LBB6_1445
; %bb.109:                              ;   in Loop: Header=BB6_59 Depth=2
	ds_load_b32 v12, v0
	v_and_b32_e32 v2, 0x4000, v30
	s_xor_b32 s13, s2, -1
	s_delay_alu instid0(VALU_DEP_1) | instskip(SKIP_1) | instid1(SALU_CYCLE_1)
	v_cmp_ne_u32_e32 vcc_lo, 0, v2
	s_and_b32 s14, s13, vcc_lo
	s_and_saveexec_b32 s13, s14
	s_cbranch_execz .LBB6_131
; %bb.110:                              ;   in Loop: Header=BB6_59 Depth=2
	s_and_saveexec_b32 s14, s4
	s_delay_alu instid0(SALU_CYCLE_1)
	s_xor_b32 s14, exec_lo, s14
	s_cbranch_execz .LBB6_128
; %bb.111:                              ;   in Loop: Header=BB6_59 Depth=2
	s_and_saveexec_b32 s19, s1
	s_cbranch_execz .LBB6_127
; %bb.112:                              ;   in Loop: Header=BB6_59 Depth=2
	s_mov_b32 s22, exec_lo
	s_mov_b32 s20, exec_lo
	v_mbcnt_lo_u32_b32 v2, s22, 0
	s_waitcnt lgkmcnt(0)
	s_waitcnt_vscnt null, 0x0
	buffer_gl1_inv
	buffer_gl0_inv
	v_cmpx_eq_u32_e32 0, v2
	s_cbranch_execz .LBB6_114
; %bb.113:                              ;   in Loop: Header=BB6_59 Depth=2
	s_bcnt1_i32_b32 s22, s22
	s_delay_alu instid0(SALU_CYCLE_1)
	v_mov_b32_e32 v2, s22
	ds_add_u64 v0, v[2:3]
	s_cbranch_execnz .LBB6_1540
.LBB6_114:                              ;   in Loop: Header=BB6_59 Depth=2
	s_or_b32 exec_lo, exec_lo, s20
	s_cbranch_execnz .LBB6_1528
; %bb.115:                              ;   in Loop: Header=BB6_59 Depth=2
	ds_load_b64 v[13:14], v0
	v_add_co_u32 v48, vcc_lo, v48, v97
	v_add_co_ci_u32_e32 v49, vcc_lo, 0, v49, vcc_lo
	s_mov_b32 s20, exec_lo
	s_waitcnt lgkmcnt(0)
	s_delay_alu instid0(VALU_DEP_1)
	v_cmpx_lt_u64_e64 v[13:14], v[48:49]
	s_cbranch_execz .LBB6_126
; %bb.116:                              ;   in Loop: Header=BB6_59 Depth=2
	s_mov_b32 s22, 0
	s_mov_b32 s27, 0
                                        ; implicit-def: $sgpr25
                                        ; implicit-def: $sgpr26
	s_branch .LBB6_118
.LBB6_117:                              ;   in Loop: Header=BB6_118 Depth=3
	s_or_b32 exec_lo, exec_lo, s45
	s_delay_alu instid0(SALU_CYCLE_1) | instskip(NEXT) | instid1(SALU_CYCLE_1)
	s_and_b32 vcc_lo, exec_lo, vcc_lo
	s_or_b32 s22, vcc_lo, s22
	s_and_not1_b32 s25, s25, exec_lo
	s_and_b32 vcc_lo, s26, exec_lo
	s_delay_alu instid0(SALU_CYCLE_1)
	s_or_b32 s25, s25, vcc_lo
	s_and_not1_b32 exec_lo, exec_lo, s22
	s_cbranch_execz .LBB6_124
.LBB6_118:                              ;   Parent Loop BB6_51 Depth=1
                                        ;     Parent Loop BB6_59 Depth=2
                                        ; =>    This Inner Loop Header: Depth=3
	s_add_i32 s27, s27, 1
                                        ; implicit-def: $sgpr45
	s_delay_alu instid0(SALU_CYCLE_1) | instskip(SKIP_1) | instid1(SALU_CYCLE_1)
	s_cmpk_lg_i32 s27, 0x2710
	s_cselect_b32 vcc_hi, -1, 0
	s_and_b32 vcc_lo, exec_lo, vcc_hi
	s_cbranch_vccz .LBB6_122
.LBB6_119:                              ;   in Loop: Header=BB6_118 Depth=3
	s_and_not1_b32 s26, s26, exec_lo
	s_and_b32 s45, s45, exec_lo
	s_mov_b32 vcc_lo, -1
	s_or_b32 s26, s26, s45
	s_and_saveexec_b32 s45, vcc_hi
	s_cbranch_execz .LBB6_117
; %bb.120:                              ;   in Loop: Header=BB6_118 Depth=3
	s_sleep 1
	s_cbranch_execnz .LBB6_1580
; %bb.121:                              ;   in Loop: Header=BB6_118 Depth=3
	ds_load_b64 v[13:14], v0
	s_and_not1_b32 s26, s26, exec_lo
	s_waitcnt lgkmcnt(0)
	v_cmp_ge_u64_e32 vcc_lo, v[13:14], v[48:49]
	s_or_not1_b32 vcc_lo, vcc_lo, exec_lo
	s_branch .LBB6_117
.LBB6_122:                              ;   in Loop: Header=BB6_118 Depth=3
	s_cbranch_execnz .LBB6_1598
; %bb.123:                              ;   in Loop: Header=BB6_118 Depth=3
	ds_load_b64 v[13:14], v0
	s_mov_b32 s27, 0
	s_mov_b32 s45, -1
	s_waitcnt lgkmcnt(0)
	flat_load_b32 v2, v[13:14] glc
	s_waitcnt vmcnt(0) lgkmcnt(0)
	buffer_gl1_inv
	buffer_gl0_inv
	v_cmp_eq_u32_e32 vcc_lo, 0, v2
	s_and_not1_b32 vcc_hi, vcc_hi, exec_lo
	s_and_b32 vcc_lo, vcc_lo, exec_lo
	s_delay_alu instid0(SALU_CYCLE_1)
	s_or_b32 vcc_hi, vcc_hi, vcc_lo
	s_branch .LBB6_119
.LBB6_124:                              ;   in Loop: Header=BB6_59 Depth=2
	s_or_b32 exec_lo, exec_lo, s22
	s_and_saveexec_b32 s22, s25
	s_delay_alu instid0(SALU_CYCLE_1)
	s_xor_b32 s22, exec_lo, s22
	s_cbranch_execz .LBB6_126
; %bb.125:                              ;   in Loop: Header=BB6_59 Depth=2
	ds_store_b32 v0, v144
	s_cbranch_execnz .LBB6_1812
.LBB6_126:                              ;   in Loop: Header=BB6_59 Depth=2
	s_or_b32 exec_lo, exec_lo, s20
	;;#ASMSTART
	s_wakeup
	;;#ASMEND
.LBB6_127:                              ;   in Loop: Header=BB6_59 Depth=2
	s_or_b32 exec_lo, exec_lo, s19
.LBB6_128:                              ;   in Loop: Header=BB6_59 Depth=2
	s_and_not1_saveexec_b32 s14, s14
	s_cbranch_execz .LBB6_130
; %bb.129:                              ;   in Loop: Header=BB6_59 Depth=2
	s_waitcnt lgkmcnt(0)
	s_waitcnt_vscnt null, 0x0
	buffer_gl1_inv
	buffer_gl0_inv
	s_barrier
.LBB6_130:                              ;   in Loop: Header=BB6_59 Depth=2
	s_or_b32 exec_lo, exec_lo, s14
.LBB6_131:                              ;   in Loop: Header=BB6_59 Depth=2
	s_delay_alu instid0(SALU_CYCLE_1)
	s_or_b32 exec_lo, exec_lo, s13
	s_cbranch_execnz .LBB6_1471
; %bb.132:                              ;   in Loop: Header=BB6_59 Depth=2
	ds_load_b64 v[13:14], v0
	v_mov_b32_e32 v9, 0
	s_waitcnt lgkmcnt(0)
	v_cmp_eq_u64_e32 vcc_lo, 0, v[13:14]
	s_or_b32 s13, vcc_lo, vcc_lo
	s_delay_alu instid0(SALU_CYCLE_1)
	s_and_b32 vcc_lo, exec_lo, s13
	s_cbranch_vccnz .LBB6_166
; %bb.133:                              ;   in Loop: Header=BB6_59 Depth=2
	s_mov_b32 s13, -1
	s_and_saveexec_b32 s14, s5
	s_cbranch_execz .LBB6_135
; %bb.134:                              ;   in Loop: Header=BB6_59 Depth=2
	ds_load_b32 v2, v0 offset:720
	s_waitcnt lgkmcnt(0)
	v_and_b32_e32 v2, 15, v2
	s_delay_alu instid0(VALU_DEP_1)
	v_cmp_eq_u32_e32 vcc_lo, 0, v2
	s_or_not1_b32 s13, vcc_lo, exec_lo
.LBB6_135:                              ;   in Loop: Header=BB6_59 Depth=2
	s_or_b32 exec_lo, exec_lo, s14
	s_and_saveexec_b32 s14, s6
	s_cbranch_execz .LBB6_137
; %bb.136:                              ;   in Loop: Header=BB6_59 Depth=2
	ds_load_b32 v2, v0 offset:784
	s_waitcnt lgkmcnt(0)
	v_and_b32_e32 v2, 15, v2
	s_delay_alu instid0(VALU_DEP_1) | instskip(SKIP_3) | instid1(SALU_CYCLE_1)
	v_cmp_eq_u32_e32 vcc_lo, 0, v2
	s_and_b32 s19, s13, vcc_lo
	s_and_not1_b32 s13, s13, exec_lo
	s_and_b32 s19, s19, exec_lo
	s_or_b32 s13, s13, s19
.LBB6_137:                              ;   in Loop: Header=BB6_59 Depth=2
	s_or_b32 exec_lo, exec_lo, s14
	v_cmp_eq_u32_e32 vcc_lo, 0, v12
	s_xor_b32 s13, s13, -1
	v_mov_b32_e32 v22, v98
	v_cndmask_b32_e64 v2, 0, 1, s13
	;;#ASMSTART
	;;#ASMEND
	v_cndmask_b32_e32 v9, 0, v8, vcc_lo
	s_delay_alu instid0(VALU_DEP_2) | instskip(SKIP_2) | instid1(VALU_DEP_3)
	v_cmp_ne_u32_e32 vcc_lo, 0, v2
	v_mov_b32_e32 v2, 0
	s_mov_b32 s13, -1
	v_dual_mov_b32 v19, v0 :: v_dual_mov_b32 v18, v9
	s_cbranch_vccnz .LBB6_153
; %bb.138:                              ;   in Loop: Header=BB6_59 Depth=2
	v_ashrrev_i32_e32 v2, 31, v9
	s_mov_b32 s13, exec_lo
	s_delay_alu instid0(VALU_DEP_1) | instskip(NEXT) | instid1(VALU_DEP_1)
	v_lshrrev_b32_e32 v2, 20, v2
	v_add_nc_u32_e32 v2, v9, v2
	s_delay_alu instid0(VALU_DEP_1) | instskip(NEXT) | instid1(VALU_DEP_1)
	v_ashrrev_i32_e32 v2, 12, v2
	v_sub_nc_u32_e32 v20, v2, v98
	s_delay_alu instid0(VALU_DEP_1)
	v_cmpx_lt_i32_e32 0, v20
	s_cbranch_execz .LBB6_143
; %bb.139:                              ;   in Loop: Header=BB6_59 Depth=2
	s_cbranch_execnz .LBB6_1552
; %bb.140:                              ;   in Loop: Header=BB6_59 Depth=2
	ds_load_b64 v[12:13], v0
	s_mov_b32 s14, 0
	s_waitcnt lgkmcnt(0)
	v_dual_mov_b32 v15, v13 :: v_dual_mov_b32 v14, v12
.LBB6_141:                              ;   Parent Loop BB6_51 Depth=1
                                        ;     Parent Loop BB6_59 Depth=2
                                        ; =>    This Inner Loop Header: Depth=3
	s_delay_alu instid0(VALU_DEP_1) | instskip(NEXT) | instid1(VALU_DEP_2)
	v_add_co_u32 v18, vcc_lo, v101, v14
	v_add_co_ci_u32_e32 v19, vcc_lo, v103, v15, vcc_lo
	v_sub_nc_u32_e32 v20, v20, v97
	s_clause 0x7
	global_load_b128 v[68:71], v[18:19], off slc dlc
	global_load_b128 v[80:83], v[18:19], off offset:512 slc dlc
	global_load_b128 v[147:150], v[18:19], off offset:1024 slc dlc
	;; [unrolled: 1-line block ×7, first 2 shown]
	v_add_co_u32 v18, vcc_lo, v101, v12
	v_add_co_ci_u32_e32 v19, vcc_lo, v103, v13, vcc_lo
	v_add_co_u32 v14, vcc_lo, v14, v112
	v_add_co_ci_u32_e32 v15, vcc_lo, v15, v113, vcc_lo
	;; [unrolled: 2-line block ×3, first 2 shown]
	v_cmp_gt_i32_e32 vcc_lo, 1, v20
	s_waitcnt vmcnt(7)
	global_store_b128 v[18:19], v[68:71], off glc slc dlc
	s_waitcnt vmcnt(6)
	global_store_b128 v[18:19], v[80:83], off offset:512 glc slc dlc
	s_waitcnt vmcnt(5)
	global_store_b128 v[18:19], v[147:150], off offset:1024 glc slc dlc
	;; [unrolled: 2-line block ×7, first 2 shown]
	s_or_b32 s14, vcc_lo, s14
	s_delay_alu instid0(SALU_CYCLE_1)
	s_and_not1_b32 exec_lo, exec_lo, s14
	s_cbranch_execnz .LBB6_141
; %bb.142:                              ;   in Loop: Header=BB6_59 Depth=2
	s_or_b32 exec_lo, exec_lo, s14
.LBB6_143:                              ;   in Loop: Header=BB6_59 Depth=2
	s_delay_alu instid0(SALU_CYCLE_1) | instskip(SKIP_4) | instid1(VALU_DEP_2)
	s_or_b32 exec_lo, exec_lo, s13
	v_lshlrev_b32_e32 v14, 12, v2
	v_mov_b32_e32 v2, 0
	s_mov_b32 s13, 0
	s_mov_b32 s19, exec_lo
                                        ; implicit-def: $vgpr18
                                        ; implicit-def: $vgpr19
                                        ; implicit-def: $vgpr22
	v_cmpx_ne_u32_e64 v9, v14
	s_cbranch_execz .LBB6_152
; %bb.144:                              ;   in Loop: Header=BB6_59 Depth=2
	v_lshlrev_b32_e32 v2, 5, v20
	v_sub_nc_u32_e32 v13, v9, v14
	s_mov_b32 s20, exec_lo
	s_delay_alu instid0(VALU_DEP_2) | instskip(NEXT) | instid1(VALU_DEP_2)
	v_sub_nc_u32_e32 v2, v99, v2
	v_ashrrev_i32_e32 v15, 31, v13
	s_delay_alu instid0(VALU_DEP_2) | instskip(NEXT) | instid1(VALU_DEP_2)
	v_ashrrev_i32_e32 v12, 31, v2
	v_lshrrev_b32_e32 v15, 23, v15
	s_delay_alu instid0(VALU_DEP_2) | instskip(NEXT) | instid1(VALU_DEP_2)
	v_lshrrev_b32_e32 v12, 27, v12
	v_add_nc_u32_e32 v19, v13, v15
	s_delay_alu instid0(VALU_DEP_2) | instskip(NEXT) | instid1(VALU_DEP_2)
	v_add_nc_u32_e32 v12, v2, v12
	v_and_b32_e32 v15, 0xfffffe00, v19
	v_ashrrev_i32_e32 v19, 9, v19
	s_delay_alu instid0(VALU_DEP_3) | instskip(NEXT) | instid1(VALU_DEP_3)
	v_and_b32_e32 v18, 0xffffffe0, v12
	v_sub_nc_u32_e32 v21, v13, v15
	v_ashrrev_i32_e32 v12, 5, v12
	s_delay_alu instid0(VALU_DEP_3) | instskip(NEXT) | instid1(VALU_DEP_3)
	v_sub_nc_u32_e32 v20, v2, v18
	v_cmp_lt_i32_e32 vcc_lo, 15, v21
	s_delay_alu instid0(VALU_DEP_2) | instskip(SKIP_1) | instid1(VALU_DEP_2)
	v_lshlrev_b32_e32 v2, 4, v20
	v_add_co_ci_u32_e64 v19, s13, 0, v19, vcc_lo
	v_lshl_add_u32 v18, v12, 9, v2
	s_delay_alu instid0(VALU_DEP_2) | instskip(NEXT) | instid1(VALU_DEP_2)
	v_sub_nc_u32_e32 v23, v19, v12
	v_sub_nc_u32_e32 v2, v13, v18
	s_delay_alu instid0(VALU_DEP_1)
	v_cmpx_lt_i32_e32 15, v2
	s_cbranch_execz .LBB6_149
; %bb.145:                              ;   in Loop: Header=BB6_59 Depth=2
	s_cbranch_execnz .LBB6_1616
; %bb.146:                              ;   in Loop: Header=BB6_59 Depth=2
	ds_load_b64 v[12:13], v0
	v_add_nc_u32_e32 v18, v18, v14
	s_mov_b32 s22, 0
	s_delay_alu instid0(VALU_DEP_1)
	v_ashrrev_i32_e32 v19, 31, v18
.LBB6_147:                              ;   Parent Loop BB6_51 Depth=1
                                        ;     Parent Loop BB6_59 Depth=2
                                        ; =>    This Inner Loop Header: Depth=3
	s_waitcnt lgkmcnt(0)
	v_add_co_u32 v80, s13, v12, v18
	s_delay_alu instid0(VALU_DEP_1)
	v_add_co_ci_u32_e64 v81, s13, v13, v19, s13
	v_sub_nc_u32_e32 v2, v2, v100
	v_add_co_u32 v18, s14, v18, v116
	global_load_b128 v[68:71], v[80:81], off slc dlc
	v_sub_nc_u32_e32 v23, v23, v97
	v_cmp_gt_i32_e64 s13, 16, v2
	v_add_co_ci_u32_e64 v19, s14, v19, v117, s14
	s_delay_alu instid0(VALU_DEP_2)
	s_or_b32 s22, s13, s22
	s_waitcnt vmcnt(0)
	global_store_b128 v[80:81], v[68:71], off glc slc dlc
	s_and_not1_b32 exec_lo, exec_lo, s22
	s_cbranch_execnz .LBB6_147
; %bb.148:                              ;   in Loop: Header=BB6_59 Depth=2
	s_or_b32 exec_lo, exec_lo, s22
.LBB6_149:                              ;   in Loop: Header=BB6_59 Depth=2
	s_delay_alu instid0(SALU_CYCLE_1) | instskip(SKIP_4) | instid1(VALU_DEP_2)
	s_or_b32 exec_lo, exec_lo, s20
	v_and_b32_e32 v12, 15, v9
	v_mov_b32_e32 v2, 0
	s_mov_b32 s14, 0
	s_mov_b32 s20, exec_lo
                                        ; implicit-def: $vgpr19
                                        ; implicit-def: $vgpr22
	v_cndmask_b32_e32 v18, v21, v12, vcc_lo
	s_delay_alu instid0(VALU_DEP_1)
	v_cmpx_ne_u32_e32 0, v18
; %bb.150:                              ;   in Loop: Header=BB6_59 Depth=2
	v_cmp_lt_i32_e64 s13, 0, v23
	v_sub_nc_u32_e32 v12, v21, v12
	s_mov_b32 s14, exec_lo
	s_delay_alu instid0(VALU_DEP_2) | instskip(NEXT) | instid1(VALU_DEP_1)
	v_cndmask_b32_e64 v2, 0, v97, s13
	v_sub_nc_u32_e32 v2, v2, v23
	s_delay_alu instid0(VALU_DEP_1) | instskip(NEXT) | instid1(VALU_DEP_1)
	v_lshl_add_u32 v19, v2, 5, v20
	v_ashrrev_i32_e32 v2, 31, v19
	s_delay_alu instid0(VALU_DEP_1) | instskip(NEXT) | instid1(VALU_DEP_1)
	v_lshrrev_b32_e32 v2, 27, v2
	v_dual_cndmask_b32 v12, 0, v12 :: v_dual_add_nc_u32 v13, v19, v2
	s_delay_alu instid0(VALU_DEP_1) | instskip(NEXT) | instid1(VALU_DEP_2)
	v_add3_u32 v2, v15, v14, v12
	v_ashrrev_i32_e32 v22, 5, v13
; %bb.151:                              ;   in Loop: Header=BB6_59 Depth=2
	s_or_b32 exec_lo, exec_lo, s20
	s_delay_alu instid0(SALU_CYCLE_1)
	s_and_b32 s13, s14, exec_lo
.LBB6_152:                              ;   in Loop: Header=BB6_59 Depth=2
	s_or_b32 exec_lo, exec_lo, s19
.LBB6_153:                              ;   in Loop: Header=BB6_59 Depth=2
	s_and_saveexec_b32 s14, s13
	s_cbranch_execz .LBB6_165
; %bb.154:                              ;   in Loop: Header=BB6_59 Depth=2
	s_delay_alu instid0(VALU_DEP_1) | instskip(SKIP_1) | instid1(VALU_DEP_1)
	v_ashrrev_i32_e32 v12, 31, v18
	s_mov_b32 s13, exec_lo
	v_lshrrev_b32_e32 v12, 22, v12
	s_delay_alu instid0(VALU_DEP_1) | instskip(NEXT) | instid1(VALU_DEP_1)
	v_add_nc_u32_e32 v12, v18, v12
	v_ashrrev_i32_e32 v21, 10, v12
	s_delay_alu instid0(VALU_DEP_1) | instskip(NEXT) | instid1(VALU_DEP_1)
	v_sub_nc_u32_e32 v20, v21, v22
	v_cmpx_lt_i32_e32 0, v20
	s_cbranch_execz .LBB6_159
; %bb.155:                              ;   in Loop: Header=BB6_59 Depth=2
	s_cbranch_execnz .LBB6_1546
; %bb.156:                              ;   in Loop: Header=BB6_59 Depth=2
	v_ashrrev_i32_e32 v12, 31, v19
	s_mov_b32 s19, 0
	s_delay_alu instid0(VALU_DEP_1) | instskip(NEXT) | instid1(VALU_DEP_1)
	v_lshrrev_b32_e32 v12, 27, v12
	v_add_nc_u32_e32 v14, v19, v12
	ds_load_b64 v[12:13], v0
	v_lshlrev_b32_e32 v15, 10, v22
	v_and_b32_e32 v14, 0xffffffe0, v14
	s_delay_alu instid0(VALU_DEP_1) | instskip(NEXT) | instid1(VALU_DEP_1)
	v_sub_nc_u32_e32 v14, v19, v14
	v_add3_u32 v22, v2, v14, v15
	s_delay_alu instid0(VALU_DEP_1)
	v_ashrrev_i32_e32 v23, 31, v22
	s_waitcnt lgkmcnt(0)
	v_dual_mov_b32 v15, v13 :: v_dual_mov_b32 v14, v12
.LBB6_157:                              ;   Parent Loop BB6_51 Depth=1
                                        ;     Parent Loop BB6_59 Depth=2
                                        ; =>    This Inner Loop Header: Depth=3
	s_delay_alu instid0(VALU_DEP_1) | instskip(NEXT) | instid1(VALU_DEP_2)
	v_add_co_u32 v68, vcc_lo, v22, v14
	v_add_co_ci_u32_e32 v69, vcc_lo, v23, v15, vcc_lo
	v_sub_nc_u32_e32 v20, v20, v97
	s_clause 0x1f
	flat_load_u8 v70, v[68:69] slc dlc
	flat_load_u8 v71, v[68:69] offset:32 slc dlc
	flat_load_u8 v80, v[68:69] offset:64 slc dlc
	;; [unrolled: 1-line block ×31, first 2 shown]
	v_add_co_u32 v68, vcc_lo, v22, v12
	v_add_co_ci_u32_e32 v69, vcc_lo, v23, v13, vcc_lo
	v_add_co_u32 v14, vcc_lo, v14, v119
	v_add_co_ci_u32_e32 v15, vcc_lo, v15, v128, vcc_lo
	;; [unrolled: 2-line block ×3, first 2 shown]
	v_cmp_gt_i32_e32 vcc_lo, 1, v20
	s_waitcnt vmcnt(31) lgkmcnt(31)
	flat_store_b8 v[68:69], v70 glc slc dlc
	s_waitcnt vmcnt(30) lgkmcnt(31)
	flat_store_b8 v[68:69], v71 offset:32 glc slc dlc
	s_waitcnt vmcnt(29) lgkmcnt(31)
	flat_store_b8 v[68:69], v80 offset:64 glc slc dlc
	;; [unrolled: 2-line block ×31, first 2 shown]
	s_or_b32 s19, vcc_lo, s19
	s_delay_alu instid0(SALU_CYCLE_1)
	s_and_not1_b32 exec_lo, exec_lo, s19
	s_cbranch_execnz .LBB6_157
; %bb.158:                              ;   in Loop: Header=BB6_59 Depth=2
	s_or_b32 exec_lo, exec_lo, s19
.LBB6_159:                              ;   in Loop: Header=BB6_59 Depth=2
	s_delay_alu instid0(SALU_CYCLE_1) | instskip(SKIP_2) | instid1(VALU_DEP_1)
	s_or_b32 exec_lo, exec_lo, s13
	v_lshlrev_b32_e32 v12, 10, v21
	s_mov_b32 s19, exec_lo
	v_cmpx_ne_u32_e64 v18, v12
	s_cbranch_execz .LBB6_164
; %bb.160:                              ;   in Loop: Header=BB6_59 Depth=2
	v_ashrrev_i32_e32 v13, 31, v19
	v_lshlrev_b32_e32 v14, 5, v20
	s_delay_alu instid0(VALU_DEP_2) | instskip(NEXT) | instid1(VALU_DEP_1)
	v_lshrrev_b32_e32 v13, 27, v13
	v_add_nc_u32_e32 v13, v19, v13
	s_delay_alu instid0(VALU_DEP_1) | instskip(NEXT) | instid1(VALU_DEP_1)
	v_and_b32_e32 v13, 0xffffffe0, v13
	v_sub_nc_u32_e32 v13, v19, v13
	s_delay_alu instid0(VALU_DEP_1) | instskip(NEXT) | instid1(VALU_DEP_1)
	v_sub_nc_u32_e32 v13, v13, v14
	v_add_nc_u32_e32 v15, v12, v13
	s_delay_alu instid0(VALU_DEP_1) | instskip(NEXT) | instid1(VALU_DEP_1)
	v_sub_nc_u32_e32 v14, v18, v15
	v_cmp_lt_i32_e32 vcc_lo, 0, v14
	s_and_b32 exec_lo, exec_lo, vcc_lo
	s_cbranch_execz .LBB6_164
; %bb.161:                              ;   in Loop: Header=BB6_59 Depth=2
	s_cbranch_execnz .LBB6_1608
; %bb.162:                              ;   in Loop: Header=BB6_59 Depth=2
	ds_load_b64 v[12:13], v0
	v_add_nc_u32_e32 v2, v15, v2
	s_mov_b32 s20, 0
	s_delay_alu instid0(VALU_DEP_1)
	v_ashrrev_i32_e32 v15, 31, v2
.LBB6_163:                              ;   Parent Loop BB6_51 Depth=1
                                        ;     Parent Loop BB6_59 Depth=2
                                        ; =>    This Inner Loop Header: Depth=3
	s_waitcnt lgkmcnt(0)
	v_add_co_u32 v18, vcc_lo, v12, v2
	s_delay_alu instid0(VALU_DEP_2)
	v_add_co_ci_u32_e32 v19, vcc_lo, v13, v15, vcc_lo
	v_sub_nc_u32_e32 v14, v14, v115
	v_add_co_u32 v2, s13, v2, v130
	flat_load_u8 v20, v[18:19] slc dlc
	v_add_co_ci_u32_e64 v15, s13, v15, v131, s13
	v_cmp_gt_i32_e32 vcc_lo, 1, v14
	s_or_b32 s20, vcc_lo, s20
	s_waitcnt vmcnt(0) lgkmcnt(0)
	flat_store_b8 v[18:19], v20 glc slc dlc
	s_and_not1_b32 exec_lo, exec_lo, s20
	s_cbranch_execnz .LBB6_163
.LBB6_164:                              ;   in Loop: Header=BB6_59 Depth=2
	s_or_b32 exec_lo, exec_lo, s19
.LBB6_165:                              ;   in Loop: Header=BB6_59 Depth=2
	s_delay_alu instid0(SALU_CYCLE_1)
	s_or_b32 exec_lo, exec_lo, s14
.LBB6_166:                              ;   in Loop: Header=BB6_59 Depth=2
	s_and_saveexec_b32 s13, s3
	s_cbranch_execz .LBB6_188
; %bb.167:                              ;   in Loop: Header=BB6_59 Depth=2
	s_and_saveexec_b32 s14, s4
	s_delay_alu instid0(SALU_CYCLE_1)
	s_xor_b32 s14, exec_lo, s14
	s_cbranch_execz .LBB6_185
; %bb.168:                              ;   in Loop: Header=BB6_59 Depth=2
	s_and_saveexec_b32 s19, s1
	s_cbranch_execz .LBB6_184
; %bb.169:                              ;   in Loop: Header=BB6_59 Depth=2
	s_mov_b32 s22, exec_lo
	s_mov_b32 s20, exec_lo
	v_mbcnt_lo_u32_b32 v2, s22, 0
	s_waitcnt lgkmcnt(0)
	s_waitcnt_vscnt null, 0x0
	buffer_gl1_inv
	buffer_gl0_inv
	v_cmpx_eq_u32_e32 0, v2
	s_cbranch_execz .LBB6_171
; %bb.170:                              ;   in Loop: Header=BB6_59 Depth=2
	s_bcnt1_i32_b32 s22, s22
	s_delay_alu instid0(SALU_CYCLE_1)
	v_mov_b32_e32 v2, s22
	ds_add_u64 v0, v[2:3]
	s_cbranch_execnz .LBB6_1582
.LBB6_171:                              ;   in Loop: Header=BB6_59 Depth=2
	s_or_b32 exec_lo, exec_lo, s20
	s_cbranch_execnz .LBB6_1560
; %bb.172:                              ;   in Loop: Header=BB6_59 Depth=2
	ds_load_b64 v[12:13], v0
	v_add_co_u32 v48, vcc_lo, v48, v97
	v_add_co_ci_u32_e32 v49, vcc_lo, 0, v49, vcc_lo
	s_mov_b32 s20, exec_lo
	s_waitcnt lgkmcnt(0)
	s_delay_alu instid0(VALU_DEP_1)
	v_cmpx_lt_u64_e64 v[12:13], v[48:49]
	s_cbranch_execz .LBB6_183
; %bb.173:                              ;   in Loop: Header=BB6_59 Depth=2
	s_mov_b32 s22, 0
	s_mov_b32 s27, 0
                                        ; implicit-def: $sgpr25
                                        ; implicit-def: $sgpr26
	s_branch .LBB6_175
.LBB6_174:                              ;   in Loop: Header=BB6_175 Depth=3
	s_or_b32 exec_lo, exec_lo, s45
	s_delay_alu instid0(SALU_CYCLE_1) | instskip(NEXT) | instid1(SALU_CYCLE_1)
	s_and_b32 vcc_lo, exec_lo, vcc_lo
	s_or_b32 s22, vcc_lo, s22
	s_and_not1_b32 s25, s25, exec_lo
	s_and_b32 vcc_lo, s26, exec_lo
	s_delay_alu instid0(SALU_CYCLE_1)
	s_or_b32 s25, s25, vcc_lo
	s_and_not1_b32 exec_lo, exec_lo, s22
	s_cbranch_execz .LBB6_181
.LBB6_175:                              ;   Parent Loop BB6_51 Depth=1
                                        ;     Parent Loop BB6_59 Depth=2
                                        ; =>    This Inner Loop Header: Depth=3
	s_add_i32 s27, s27, 1
                                        ; implicit-def: $sgpr45
	s_delay_alu instid0(SALU_CYCLE_1) | instskip(SKIP_1) | instid1(SALU_CYCLE_1)
	s_cmpk_lg_i32 s27, 0x2710
	s_cselect_b32 vcc_hi, -1, 0
	s_and_b32 vcc_lo, exec_lo, vcc_hi
	s_cbranch_vccz .LBB6_179
.LBB6_176:                              ;   in Loop: Header=BB6_175 Depth=3
	s_and_not1_b32 s26, s26, exec_lo
	s_and_b32 s45, s45, exec_lo
	s_mov_b32 vcc_lo, -1
	s_or_b32 s26, s26, s45
	s_and_saveexec_b32 s45, vcc_hi
	s_cbranch_execz .LBB6_174
; %bb.177:                              ;   in Loop: Header=BB6_175 Depth=3
	s_sleep 1
	s_cbranch_execnz .LBB6_1634
; %bb.178:                              ;   in Loop: Header=BB6_175 Depth=3
	ds_load_b64 v[12:13], v0
	s_and_not1_b32 s26, s26, exec_lo
	s_waitcnt lgkmcnt(0)
	v_cmp_ge_u64_e32 vcc_lo, v[12:13], v[48:49]
	s_or_not1_b32 vcc_lo, vcc_lo, exec_lo
	s_branch .LBB6_174
.LBB6_179:                              ;   in Loop: Header=BB6_175 Depth=3
	s_cbranch_execnz .LBB6_1644
; %bb.180:                              ;   in Loop: Header=BB6_175 Depth=3
	ds_load_b64 v[12:13], v0
	s_mov_b32 s27, 0
	s_mov_b32 s45, -1
	s_waitcnt lgkmcnt(0)
	flat_load_b32 v2, v[12:13] glc
	s_waitcnt vmcnt(0) lgkmcnt(0)
	buffer_gl1_inv
	buffer_gl0_inv
	v_cmp_eq_u32_e32 vcc_lo, 0, v2
	s_and_not1_b32 vcc_hi, vcc_hi, exec_lo
	s_and_b32 vcc_lo, vcc_lo, exec_lo
	s_delay_alu instid0(SALU_CYCLE_1)
	s_or_b32 vcc_hi, vcc_hi, vcc_lo
	s_branch .LBB6_176
.LBB6_181:                              ;   in Loop: Header=BB6_59 Depth=2
	s_or_b32 exec_lo, exec_lo, s22
	s_and_saveexec_b32 s22, s25
	s_delay_alu instid0(SALU_CYCLE_1)
	s_xor_b32 s22, exec_lo, s22
	s_cbranch_execz .LBB6_183
; %bb.182:                              ;   in Loop: Header=BB6_59 Depth=2
	ds_store_b32 v0, v144
	s_cbranch_execnz .LBB6_1858
.LBB6_183:                              ;   in Loop: Header=BB6_59 Depth=2
	s_or_b32 exec_lo, exec_lo, s20
	;;#ASMSTART
	s_wakeup
	;;#ASMEND
.LBB6_184:                              ;   in Loop: Header=BB6_59 Depth=2
	s_or_b32 exec_lo, exec_lo, s19
.LBB6_185:                              ;   in Loop: Header=BB6_59 Depth=2
	s_and_not1_saveexec_b32 s14, s14
	s_cbranch_execz .LBB6_187
; %bb.186:                              ;   in Loop: Header=BB6_59 Depth=2
	s_waitcnt lgkmcnt(0)
	s_waitcnt_vscnt null, 0x0
	buffer_gl1_inv
	buffer_gl0_inv
	s_barrier
.LBB6_187:                              ;   in Loop: Header=BB6_59 Depth=2
	s_or_b32 exec_lo, exec_lo, s14
.LBB6_188:                              ;   in Loop: Header=BB6_59 Depth=2
	s_delay_alu instid0(SALU_CYCLE_1) | instskip(SKIP_1) | instid1(SALU_CYCLE_1)
	s_or_b32 exec_lo, exec_lo, s13
                                        ; implicit-def: $vgpr2
	s_and_saveexec_b32 s13, s7
	s_xor_b32 s14, exec_lo, s13
	s_cbranch_execz .LBB6_192
; %bb.189:                              ;   in Loop: Header=BB6_59 Depth=2
	v_and_b32_e32 v2, 16, v30
	v_cmp_lt_i32_e32 vcc_lo, 0, v9
	s_delay_alu instid0(VALU_DEP_2) | instskip(SKIP_1) | instid1(VALU_DEP_2)
	v_cmp_ne_u32_e64 s13, 0, v2
	v_and_b32_e32 v2, 16, v30
	s_and_b32 s19, s13, vcc_lo
	s_delay_alu instid0(SALU_CYCLE_1)
	s_and_saveexec_b32 s13, s19
	s_cbranch_execz .LBB6_191
; %bb.190:                              ;   in Loop: Header=BB6_59 Depth=2
	v_mov_b32_e32 v2, 1
	s_waitcnt lgkmcnt(0)
	s_waitcnt_vscnt null, 0x0
	buffer_gl1_inv
	buffer_gl0_inv
.LBB6_191:                              ;   in Loop: Header=BB6_59 Depth=2
	s_or_b32 exec_lo, exec_lo, s13
.LBB6_192:                              ;   in Loop: Header=BB6_59 Depth=2
	s_and_not1_saveexec_b32 s13, s14
	s_cbranch_execz .LBB6_214
; %bb.193:                              ;   in Loop: Header=BB6_59 Depth=2
	s_and_saveexec_b32 s14, s4
	s_delay_alu instid0(SALU_CYCLE_1)
	s_xor_b32 s14, exec_lo, s14
	s_cbranch_execz .LBB6_211
; %bb.194:                              ;   in Loop: Header=BB6_59 Depth=2
	s_and_saveexec_b32 s19, s1
	s_cbranch_execz .LBB6_210
; %bb.195:                              ;   in Loop: Header=BB6_59 Depth=2
	s_mov_b32 s22, exec_lo
	s_mov_b32 s20, exec_lo
	v_mbcnt_lo_u32_b32 v2, s22, 0
	;;#ASMSTART
	s_waitcnt lgkmcnt(0) vmcnt(0)
	;;#ASMEND
	s_delay_alu instid0(VALU_DEP_1)
	v_cmpx_eq_u32_e32 0, v2
	s_cbranch_execz .LBB6_197
; %bb.196:                              ;   in Loop: Header=BB6_59 Depth=2
	s_bcnt1_i32_b32 s22, s22
	s_delay_alu instid0(SALU_CYCLE_1)
	v_mov_b32_e32 v2, s22
	ds_add_u64 v0, v[2:3]
	s_cbranch_execnz .LBB6_1590
.LBB6_197:                              ;   in Loop: Header=BB6_59 Depth=2
	s_or_b32 exec_lo, exec_lo, s20
	s_cbranch_execnz .LBB6_1566
; %bb.198:                              ;   in Loop: Header=BB6_59 Depth=2
	ds_load_b64 v[12:13], v0
	v_add_co_u32 v48, vcc_lo, v48, v97
	v_add_co_ci_u32_e32 v49, vcc_lo, 0, v49, vcc_lo
	s_mov_b32 s20, exec_lo
	s_waitcnt lgkmcnt(0)
	s_delay_alu instid0(VALU_DEP_1)
	v_cmpx_lt_u64_e64 v[12:13], v[48:49]
	s_cbranch_execz .LBB6_209
; %bb.199:                              ;   in Loop: Header=BB6_59 Depth=2
	s_mov_b32 s22, 0
	s_mov_b32 s27, 0
                                        ; implicit-def: $sgpr25
                                        ; implicit-def: $sgpr26
	s_branch .LBB6_201
.LBB6_200:                              ;   in Loop: Header=BB6_201 Depth=3
	s_or_b32 exec_lo, exec_lo, s45
	s_delay_alu instid0(SALU_CYCLE_1) | instskip(NEXT) | instid1(SALU_CYCLE_1)
	s_and_b32 vcc_lo, exec_lo, vcc_lo
	s_or_b32 s22, vcc_lo, s22
	s_and_not1_b32 s25, s25, exec_lo
	s_and_b32 vcc_lo, s26, exec_lo
	s_delay_alu instid0(SALU_CYCLE_1)
	s_or_b32 s25, s25, vcc_lo
	s_and_not1_b32 exec_lo, exec_lo, s22
	s_cbranch_execz .LBB6_207
.LBB6_201:                              ;   Parent Loop BB6_51 Depth=1
                                        ;     Parent Loop BB6_59 Depth=2
                                        ; =>    This Inner Loop Header: Depth=3
	s_add_i32 s27, s27, 1
                                        ; implicit-def: $sgpr45
	s_delay_alu instid0(SALU_CYCLE_1) | instskip(SKIP_1) | instid1(SALU_CYCLE_1)
	s_cmpk_lg_i32 s27, 0x2710
	s_cselect_b32 vcc_hi, -1, 0
	s_and_b32 vcc_lo, exec_lo, vcc_hi
	s_cbranch_vccz .LBB6_205
.LBB6_202:                              ;   in Loop: Header=BB6_201 Depth=3
	s_and_not1_b32 s26, s26, exec_lo
	s_and_b32 s45, s45, exec_lo
	s_mov_b32 vcc_lo, -1
	s_or_b32 s26, s26, s45
	s_and_saveexec_b32 s45, vcc_hi
	s_cbranch_execz .LBB6_200
; %bb.203:                              ;   in Loop: Header=BB6_201 Depth=3
	s_sleep 1
	s_cbranch_execnz .LBB6_1638
; %bb.204:                              ;   in Loop: Header=BB6_201 Depth=3
	ds_load_b64 v[12:13], v0
	s_and_not1_b32 s26, s26, exec_lo
	s_waitcnt lgkmcnt(0)
	v_cmp_ge_u64_e32 vcc_lo, v[12:13], v[48:49]
	s_or_not1_b32 vcc_lo, vcc_lo, exec_lo
	s_branch .LBB6_200
.LBB6_205:                              ;   in Loop: Header=BB6_201 Depth=3
	s_cbranch_execnz .LBB6_1658
; %bb.206:                              ;   in Loop: Header=BB6_201 Depth=3
	ds_load_b64 v[12:13], v0
	s_mov_b32 s27, 0
	s_mov_b32 s45, -1
	s_waitcnt lgkmcnt(0)
	s_waitcnt_vscnt null, 0x0
	flat_load_b32 v2, v[12:13] glc
	s_waitcnt vmcnt(0) lgkmcnt(0)
	buffer_gl1_inv
	buffer_gl0_inv
	v_cmp_eq_u32_e32 vcc_lo, 0, v2
	s_and_not1_b32 vcc_hi, vcc_hi, exec_lo
	s_and_b32 vcc_lo, vcc_lo, exec_lo
	s_delay_alu instid0(SALU_CYCLE_1)
	s_or_b32 vcc_hi, vcc_hi, vcc_lo
	s_branch .LBB6_202
.LBB6_207:                              ;   in Loop: Header=BB6_59 Depth=2
	s_or_b32 exec_lo, exec_lo, s22
	s_and_saveexec_b32 s22, s25
	s_delay_alu instid0(SALU_CYCLE_1)
	s_xor_b32 s22, exec_lo, s22
	s_cbranch_execz .LBB6_209
; %bb.208:                              ;   in Loop: Header=BB6_59 Depth=2
	ds_store_b32 v0, v144
	s_cbranch_execnz .LBB6_1862
.LBB6_209:                              ;   in Loop: Header=BB6_59 Depth=2
	s_or_b32 exec_lo, exec_lo, s20
	;;#ASMSTART
	s_wakeup
	;;#ASMEND
.LBB6_210:                              ;   in Loop: Header=BB6_59 Depth=2
	s_or_b32 exec_lo, exec_lo, s19
.LBB6_211:                              ;   in Loop: Header=BB6_59 Depth=2
	s_and_not1_saveexec_b32 s14, s14
	s_cbranch_execz .LBB6_213
; %bb.212:                              ;   in Loop: Header=BB6_59 Depth=2
	;;#ASMSTART
	s_waitcnt lgkmcnt(0) vmcnt(0)
	;;#ASMEND
	s_waitcnt lgkmcnt(0)
	s_waitcnt_vscnt null, 0x0
	s_barrier
.LBB6_213:                              ;   in Loop: Header=BB6_59 Depth=2
	s_or_b32 exec_lo, exec_lo, s14
	v_and_b32_e32 v2, 16, v30
.LBB6_214:                              ;   in Loop: Header=BB6_59 Depth=2
	s_or_b32 exec_lo, exec_lo, s13
	s_delay_alu instid0(SALU_CYCLE_1) | instskip(NEXT) | instid1(VALU_DEP_1)
	s_mov_b32 s13, exec_lo
	v_cmpx_ne_u32_e32 0, v2
	s_cbranch_execz .LBB6_218
; %bb.215:                              ;   in Loop: Header=BB6_59 Depth=2
	s_and_saveexec_b32 s14, s11
	s_cbranch_execz .LBB6_217
; %bb.216:                              ;   in Loop: Header=BB6_59 Depth=2
	s_waitcnt lgkmcnt(0)
	s_waitcnt_vscnt null, 0x0
	flat_store_b32 v[38:39], v144
.LBB6_217:                              ;   in Loop: Header=BB6_59 Depth=2
	s_or_b32 exec_lo, exec_lo, s14
	v_add_co_u32 v34, vcc_lo, v34, 2
	v_add_co_ci_u32_e32 v35, vcc_lo, 0, v35, vcc_lo
	s_waitcnt lgkmcnt(0)
	s_waitcnt_vscnt null, 0x0
	flat_store_b64 v[32:33], v[34:35]
.LBB6_218:                              ;   in Loop: Header=BB6_59 Depth=2
	s_or_b32 exec_lo, exec_lo, s13
	v_dual_mov_b32 v2, s18 :: v_dual_add_nc_u32 v17, v8, v17
	s_xor_b32 s13, s17, -1
	s_mov_b32 s17, 0
	s_mov_b32 s18, 2
	s_delay_alu instid0(VALU_DEP_1) | instskip(SKIP_1) | instid1(SALU_CYCLE_1)
	v_cmp_ge_i32_e32 vcc_lo, v17, v16
	s_or_b32 s13, s13, vcc_lo
	s_and_b32 s13, exec_lo, s13
	s_delay_alu instid0(SALU_CYCLE_1) | instskip(NEXT) | instid1(SALU_CYCLE_1)
	s_or_b32 s16, s13, s16
	s_and_not1_b32 exec_lo, exec_lo, s16
	s_cbranch_execnz .LBB6_59
; %bb.219:                              ;   in Loop: Header=BB6_51 Depth=1
	s_or_b32 exec_lo, exec_lo, s16
.LBB6_220:                              ;   in Loop: Header=BB6_51 Depth=1
	s_delay_alu instid0(SALU_CYCLE_1) | instskip(NEXT) | instid1(SALU_CYCLE_1)
	s_or_b32 exec_lo, exec_lo, s15
	s_mov_b32 s14, exec_lo
	v_cmpx_gt_i32_e32 2, v2
	s_cbranch_execz .LBB6_301
; %bb.221:                              ;   in Loop: Header=BB6_51 Depth=1
	v_cmp_eq_u32_e64 s13, 0, v2
	s_mov_b32 s15, 0
.LBB6_222:                              ;   Parent Loop BB6_51 Depth=1
                                        ; =>  This Loop Header: Depth=2
                                        ;       Child Loop BB6_228 Depth 3
                                        ;       Child Loop BB6_255 Depth 3
	;; [unrolled: 1-line block ×3, first 2 shown]
	v_and_b32_e32 v2, 8, v30
	s_mov_b32 s17, -1
	s_mov_b32 s16, exec_lo
	s_delay_alu instid0(VALU_DEP_1)
	v_cmpx_ne_u32_e32 0, v2
	s_cbranch_execz .LBB6_236
; %bb.223:                              ;   in Loop: Header=BB6_222 Depth=2
	v_add_co_u32 v11, vcc_lo, v50, 8
	v_add_co_ci_u32_e32 v12, vcc_lo, 0, v51, vcc_lo
	v_add_co_u32 v9, vcc_lo, v34, 2
	v_add_co_ci_u32_e32 v10, vcc_lo, 0, v35, vcc_lo
	v_mov_b32_e32 v2, 1
	s_mov_b32 s17, exec_lo
	s_delay_alu instid0(VALU_DEP_2)
	v_cmpx_lt_u64_e64 v[11:12], v[9:10]
	s_cbranch_execz .LBB6_235
; %bb.224:                              ;   in Loop: Header=BB6_222 Depth=2
	v_mov_b32_e32 v2, 0
	s_mov_b32 s18, 0
                                        ; implicit-def: $sgpr19
	s_branch .LBB6_228
.LBB6_225:                              ;   in Loop: Header=BB6_228 Depth=3
	s_or_b32 exec_lo, exec_lo, s26
	v_mov_b32_e32 v11, 0
	s_or_not1_b32 s25, s25, exec_lo
.LBB6_226:                              ;   in Loop: Header=BB6_228 Depth=3
	s_or_b32 exec_lo, exec_lo, s22
	s_delay_alu instid0(VALU_DEP_1) | instskip(SKIP_2) | instid1(SALU_CYCLE_1)
	v_mov_b32_e32 v2, v11
	s_and_not1_b32 s19, s19, exec_lo
	s_and_b32 s22, s25, exec_lo
	s_or_b32 s19, s19, s22
.LBB6_227:                              ;   in Loop: Header=BB6_228 Depth=3
	s_or_b32 exec_lo, exec_lo, s20
	s_waitcnt vmcnt(0) lgkmcnt(0)
	v_add_co_u32 v11, vcc_lo, v50, 8
	v_add_co_ci_u32_e32 v12, vcc_lo, 0, v51, vcc_lo
	s_xor_b32 s20, s19, -1
	s_delay_alu instid0(VALU_DEP_1) | instskip(SKIP_1) | instid1(SALU_CYCLE_1)
	v_cmp_ge_u64_e32 vcc_lo, v[11:12], v[9:10]
	s_or_b32 s20, s20, vcc_lo
	s_and_b32 s20, exec_lo, s20
	s_delay_alu instid0(SALU_CYCLE_1) | instskip(NEXT) | instid1(SALU_CYCLE_1)
	s_or_b32 s18, s20, s18
	s_and_not1_b32 exec_lo, exec_lo, s18
	s_cbranch_execz .LBB6_234
.LBB6_228:                              ;   Parent Loop BB6_51 Depth=1
                                        ;     Parent Loop BB6_222 Depth=2
                                        ; =>    This Inner Loop Header: Depth=3
	s_sleep 1
	flat_load_b64 v[50:51], v[32:33] glc
	v_and_b32_e32 v11, 64, v30
	s_and_not1_b32 s19, s19, exec_lo
	s_mov_b32 s20, exec_lo
	s_delay_alu instid0(VALU_DEP_1)
	v_cmpx_eq_u32_e32 0, v11
	s_cbranch_execz .LBB6_227
; %bb.229:                              ;   in Loop: Header=BB6_228 Depth=3
	v_add_nc_u32_e32 v11, 1, v2
	s_mov_b32 s25, -1
	s_mov_b32 s22, exec_lo
	v_cmpx_lt_i32_e32 0x270e, v2
	s_cbranch_execz .LBB6_226
; %bb.230:                              ;   in Loop: Header=BB6_228 Depth=3
	s_cbranch_execnz .LBB6_1465
; %bb.231:                              ;   in Loop: Header=BB6_228 Depth=3
	ds_load_b64 v[11:12], v0
	s_mov_b32 s26, exec_lo
	s_waitcnt vmcnt(0) lgkmcnt(0)
	s_waitcnt_vscnt null, 0x0
	flat_load_b32 v2, v[11:12] glc
	s_waitcnt vmcnt(0) lgkmcnt(0)
	buffer_gl1_inv
	buffer_gl0_inv
	v_cmpx_ne_u32_e32 0, v2
	s_cbranch_execz .LBB6_225
; %bb.232:                              ;   in Loop: Header=BB6_228 Depth=3
	ds_store_b32 v0, v2
	s_cbranch_execnz .LBB6_1477
; %bb.233:                              ;   in Loop: Header=BB6_228 Depth=3
	v_or_b32_e32 v30, 64, v30
	s_xor_b32 s25, exec_lo, -1
	s_branch .LBB6_225
.LBB6_234:                              ;   in Loop: Header=BB6_222 Depth=2
	s_or_b32 exec_lo, exec_lo, s18
	v_and_b32_e32 v2, 8, v30
.LBB6_235:                              ;   in Loop: Header=BB6_222 Depth=2
	s_or_b32 exec_lo, exec_lo, s17
	s_delay_alu instid0(VALU_DEP_1)
	v_cmp_eq_u32_e32 vcc_lo, 0, v2
	;;#ASMSTART
	s_wakeup
	;;#ASMEND
	s_or_not1_b32 s17, vcc_lo, exec_lo
.LBB6_236:                              ;   in Loop: Header=BB6_222 Depth=2
	s_or_b32 exec_lo, exec_lo, s16
	v_sub_nc_u32_e32 v2, v16, v17
	s_xor_b32 s13, s13, -1
	s_delay_alu instid0(SALU_CYCLE_1) | instskip(NEXT) | instid1(SALU_CYCLE_1)
	s_and_b32 s13, exec_lo, s13
	s_or_b32 s15, s13, s15
	s_delay_alu instid0(VALU_DEP_1) | instskip(SKIP_1) | instid1(SALU_CYCLE_1)
	v_min_i32_e32 v8, v8, v2
	s_xor_b32 s13, s17, -1
	s_and_saveexec_b32 s16, s13
	s_cbranch_execz .LBB6_246
; %bb.237:                              ;   in Loop: Header=BB6_222 Depth=2
	v_and_b32_e32 v2, 0x100, v30
	s_mov_b32 s13, -1
                                        ; implicit-def: $vgpr9_vgpr10
	s_delay_alu instid0(VALU_DEP_1)
	v_cmp_ne_u32_e32 vcc_lo, 0, v2
	v_and_b32_e32 v2, 7, v34
	s_and_saveexec_b32 s17, vcc_lo
	s_cbranch_execz .LBB6_241
; %bb.238:                              ;   in Loop: Header=BB6_222 Depth=2
	s_delay_alu instid0(VALU_DEP_1)
	v_mad_u64_u32 v[11:12], null, v2, 24, v[6:7]
	v_ashrrev_i32_e32 v9, 31, v8
	flat_load_b32 v10, v[11:12]
	flat_store_b64 v[11:12], v[8:9] offset:8
	s_waitcnt vmcnt(0) lgkmcnt(1)
	v_cmp_ne_u32_e32 vcc_lo, 1, v10
	v_cmp_eq_u32_e64 s13, 1, v10
                                        ; implicit-def: $vgpr9_vgpr10
	s_delay_alu instid0(VALU_DEP_1)
	s_and_saveexec_b32 s18, s13
	s_cbranch_execz .LBB6_240
; %bb.239:                              ;   in Loop: Header=BB6_222 Depth=2
	flat_load_b32 v9, v[11:12] offset:4 glc
	s_waitcnt vmcnt(0) lgkmcnt(0)
	v_ashrrev_i32_e32 v10, 31, v9
.LBB6_240:                              ;   in Loop: Header=BB6_222 Depth=2
	s_or_b32 exec_lo, exec_lo, s18
	s_delay_alu instid0(SALU_CYCLE_1)
	s_or_not1_b32 s13, vcc_lo, exec_lo
.LBB6_241:                              ;   in Loop: Header=BB6_222 Depth=2
	s_or_b32 exec_lo, exec_lo, s17
	s_and_saveexec_b32 s17, s13
; %bb.242:                              ;   in Loop: Header=BB6_222 Depth=2
	v_mad_i64_i32 v[9:10], null, v2, v86, 0
; %bb.243:                              ;   in Loop: Header=BB6_222 Depth=2
	s_or_b32 exec_lo, exec_lo, s17
	s_delay_alu instid0(VALU_DEP_1) | instskip(SKIP_1) | instid1(VALU_DEP_3)
	v_add_co_u32 v9, vcc_lo, v36, v9
	v_and_b32_e32 v2, 0x2000, v30
	v_add_co_ci_u32_e32 v10, vcc_lo, v37, v10, vcc_lo
	s_mov_b32 s13, exec_lo
	ds_store_b64 v0, v[9:10] offset:784
	v_cmpx_ne_u32_e32 0, v2
	s_cbranch_execz .LBB6_245
; %bb.244:                              ;   in Loop: Header=BB6_222 Depth=2
	ds_load_b64 v[9:10], v0 offset:584
	s_waitcnt lgkmcnt(0)
	v_add_co_u32 v9, vcc_lo, v9, 1
	v_add_co_ci_u32_e32 v10, vcc_lo, 0, v10, vcc_lo
	ds_store_b64 v0, v[9:10] offset:584
.LBB6_245:                              ;   in Loop: Header=BB6_222 Depth=2
	s_or_b32 exec_lo, exec_lo, s13
	v_add_co_u32 v34, vcc_lo, v34, 2
	v_add_co_ci_u32_e32 v35, vcc_lo, 0, v35, vcc_lo
.LBB6_246:                              ;   in Loop: Header=BB6_222 Depth=2
	s_or_b32 exec_lo, exec_lo, s16
	s_and_saveexec_b32 s13, s3
	s_cbranch_execz .LBB6_268
; %bb.247:                              ;   in Loop: Header=BB6_222 Depth=2
	s_and_saveexec_b32 s16, s4
	s_delay_alu instid0(SALU_CYCLE_1)
	s_xor_b32 s16, exec_lo, s16
	s_cbranch_execz .LBB6_265
; %bb.248:                              ;   in Loop: Header=BB6_222 Depth=2
	s_and_saveexec_b32 s17, s1
	s_cbranch_execz .LBB6_264
; %bb.249:                              ;   in Loop: Header=BB6_222 Depth=2
	s_mov_b32 s19, exec_lo
	s_mov_b32 s18, exec_lo
	v_mbcnt_lo_u32_b32 v2, s19, 0
	s_waitcnt lgkmcnt(0)
	s_waitcnt_vscnt null, 0x0
	buffer_gl1_inv
	buffer_gl0_inv
	v_cmpx_eq_u32_e32 0, v2
	s_cbranch_execz .LBB6_251
; %bb.250:                              ;   in Loop: Header=BB6_222 Depth=2
	s_bcnt1_i32_b32 s19, s19
	s_delay_alu instid0(SALU_CYCLE_1)
	v_mov_b32_e32 v2, s19
	ds_add_u64 v0, v[2:3]
	s_cbranch_execnz .LBB6_1508
.LBB6_251:                              ;   in Loop: Header=BB6_222 Depth=2
	s_or_b32 exec_lo, exec_lo, s18
	s_cbranch_execnz .LBB6_1490
; %bb.252:                              ;   in Loop: Header=BB6_222 Depth=2
	ds_load_b64 v[9:10], v0
	v_add_co_u32 v48, vcc_lo, v48, v97
	v_add_co_ci_u32_e32 v49, vcc_lo, 0, v49, vcc_lo
	s_mov_b32 s18, exec_lo
	s_waitcnt lgkmcnt(0)
	s_delay_alu instid0(VALU_DEP_1)
	v_cmpx_lt_u64_e64 v[9:10], v[48:49]
	s_cbranch_execz .LBB6_263
; %bb.253:                              ;   in Loop: Header=BB6_222 Depth=2
	s_mov_b32 s19, 0
	s_mov_b32 s25, 0
                                        ; implicit-def: $sgpr20
                                        ; implicit-def: $sgpr22
	s_branch .LBB6_255
.LBB6_254:                              ;   in Loop: Header=BB6_255 Depth=3
	s_or_b32 exec_lo, exec_lo, vcc_hi
	s_delay_alu instid0(SALU_CYCLE_1) | instskip(NEXT) | instid1(SALU_CYCLE_1)
	s_and_b32 s26, exec_lo, s27
	s_or_b32 s19, s26, s19
	s_and_not1_b32 s20, s20, exec_lo
	s_and_b32 s26, s22, exec_lo
	s_delay_alu instid0(SALU_CYCLE_1)
	s_or_b32 s20, s20, s26
	s_and_not1_b32 exec_lo, exec_lo, s19
	s_cbranch_execz .LBB6_261
.LBB6_255:                              ;   Parent Loop BB6_51 Depth=1
                                        ;     Parent Loop BB6_222 Depth=2
                                        ; =>    This Inner Loop Header: Depth=3
	s_add_i32 s25, s25, 1
                                        ; implicit-def: $sgpr27
	s_delay_alu instid0(SALU_CYCLE_1) | instskip(SKIP_1) | instid1(SALU_CYCLE_1)
	s_cmpk_lg_i32 s25, 0x2710
	s_cselect_b32 s26, -1, 0
	s_and_b32 vcc_lo, exec_lo, s26
	s_cbranch_vccz .LBB6_259
.LBB6_256:                              ;   in Loop: Header=BB6_255 Depth=3
	s_and_not1_b32 s22, s22, exec_lo
	s_and_b32 vcc_lo, s27, exec_lo
	s_mov_b32 s27, -1
	s_or_b32 s22, s22, vcc_lo
	s_and_saveexec_b32 vcc_hi, s26
	s_cbranch_execz .LBB6_254
; %bb.257:                              ;   in Loop: Header=BB6_255 Depth=3
	s_sleep 1
	s_cbranch_execnz .LBB6_1538
; %bb.258:                              ;   in Loop: Header=BB6_255 Depth=3
	ds_load_b64 v[9:10], v0
	s_and_not1_b32 s22, s22, exec_lo
	s_waitcnt lgkmcnt(0)
	v_cmp_ge_u64_e32 vcc_lo, v[9:10], v[48:49]
	s_or_not1_b32 s27, vcc_lo, exec_lo
	s_branch .LBB6_254
.LBB6_259:                              ;   in Loop: Header=BB6_255 Depth=3
	s_cbranch_execnz .LBB6_1544
; %bb.260:                              ;   in Loop: Header=BB6_255 Depth=3
	ds_load_b64 v[9:10], v0
	s_and_not1_b32 s26, s26, exec_lo
	s_mov_b32 s25, 0
	s_mov_b32 s27, -1
	s_waitcnt lgkmcnt(0)
	flat_load_b32 v2, v[9:10] glc
	s_waitcnt vmcnt(0) lgkmcnt(0)
	buffer_gl1_inv
	buffer_gl0_inv
	v_cmp_eq_u32_e32 vcc_lo, 0, v2
	s_and_b32 vcc_lo, vcc_lo, exec_lo
	s_delay_alu instid0(SALU_CYCLE_1)
	s_or_b32 s26, s26, vcc_lo
	s_branch .LBB6_256
.LBB6_261:                              ;   in Loop: Header=BB6_222 Depth=2
	s_or_b32 exec_lo, exec_lo, s19
	s_and_saveexec_b32 s19, s20
	s_delay_alu instid0(SALU_CYCLE_1)
	s_xor_b32 s19, exec_lo, s19
	s_cbranch_execz .LBB6_263
; %bb.262:                              ;   in Loop: Header=BB6_222 Depth=2
	ds_store_b32 v0, v144
	s_cbranch_execnz .LBB6_1756
.LBB6_263:                              ;   in Loop: Header=BB6_222 Depth=2
	s_or_b32 exec_lo, exec_lo, s18
	;;#ASMSTART
	s_wakeup
	;;#ASMEND
.LBB6_264:                              ;   in Loop: Header=BB6_222 Depth=2
	s_or_b32 exec_lo, exec_lo, s17
.LBB6_265:                              ;   in Loop: Header=BB6_222 Depth=2
	s_and_not1_saveexec_b32 s16, s16
	s_cbranch_execz .LBB6_267
; %bb.266:                              ;   in Loop: Header=BB6_222 Depth=2
	s_waitcnt lgkmcnt(0)
	s_waitcnt_vscnt null, 0x0
	buffer_gl1_inv
	buffer_gl0_inv
	s_barrier
.LBB6_267:                              ;   in Loop: Header=BB6_222 Depth=2
	s_or_b32 exec_lo, exec_lo, s16
.LBB6_268:                              ;   in Loop: Header=BB6_222 Depth=2
	s_delay_alu instid0(SALU_CYCLE_1) | instskip(SKIP_1) | instid1(SALU_CYCLE_1)
	s_or_b32 exec_lo, exec_lo, s13
                                        ; implicit-def: $vgpr2
	s_and_saveexec_b32 s13, s7
	s_xor_b32 s16, exec_lo, s13
	s_cbranch_execz .LBB6_273
; %bb.269:                              ;   in Loop: Header=BB6_222 Depth=2
	s_cbranch_execnz .LBB6_1463
; %bb.270:                              ;   in Loop: Header=BB6_222 Depth=2
	ds_load_b32 v2, v0
	v_cmp_lt_i32_e32 vcc_lo, 0, v8
	s_waitcnt lgkmcnt(0)
	v_readfirstlane_b32 s13, v2
	v_and_b32_e32 v2, 16, v30
	s_delay_alu instid0(VALU_DEP_2) | instskip(NEXT) | instid1(VALU_DEP_1)
	s_cmp_eq_u32 s13, 0
	v_cmp_ne_u32_e64 s13, 0, v2
	s_cselect_b32 s17, -1, 0
	v_and_b32_e32 v2, 16, v30
	s_and_b32 s17, vcc_lo, s17
	s_delay_alu instid0(VALU_DEP_2) | instid1(SALU_CYCLE_1)
	s_and_b32 s17, s13, s17
	s_delay_alu instid0(SALU_CYCLE_1)
	s_and_saveexec_b32 s13, s17
	s_cbranch_execz .LBB6_272
; %bb.271:                              ;   in Loop: Header=BB6_222 Depth=2
	v_mov_b32_e32 v2, 1
	s_waitcnt_vscnt null, 0x0
	buffer_gl1_inv
	buffer_gl0_inv
.LBB6_272:                              ;   in Loop: Header=BB6_222 Depth=2
	s_or_b32 exec_lo, exec_lo, s13
.LBB6_273:                              ;   in Loop: Header=BB6_222 Depth=2
	s_and_not1_saveexec_b32 s13, s16
	s_cbranch_execz .LBB6_295
; %bb.274:                              ;   in Loop: Header=BB6_222 Depth=2
	s_and_saveexec_b32 s16, s4
	s_delay_alu instid0(SALU_CYCLE_1)
	s_xor_b32 s16, exec_lo, s16
	s_cbranch_execz .LBB6_292
; %bb.275:                              ;   in Loop: Header=BB6_222 Depth=2
	s_and_saveexec_b32 s17, s1
	s_cbranch_execz .LBB6_291
; %bb.276:                              ;   in Loop: Header=BB6_222 Depth=2
	s_mov_b32 s19, exec_lo
	s_mov_b32 s18, exec_lo
	v_mbcnt_lo_u32_b32 v2, s19, 0
	;;#ASMSTART
	s_waitcnt lgkmcnt(0) vmcnt(0)
	;;#ASMEND
	s_delay_alu instid0(VALU_DEP_1)
	v_cmpx_eq_u32_e32 0, v2
	s_cbranch_execz .LBB6_278
; %bb.277:                              ;   in Loop: Header=BB6_222 Depth=2
	s_bcnt1_i32_b32 s19, s19
	s_delay_alu instid0(SALU_CYCLE_1)
	v_mov_b32_e32 v2, s19
	ds_add_u64 v0, v[2:3]
	s_cbranch_execnz .LBB6_1526
.LBB6_278:                              ;   in Loop: Header=BB6_222 Depth=2
	s_or_b32 exec_lo, exec_lo, s18
	s_cbranch_execnz .LBB6_1506
; %bb.279:                              ;   in Loop: Header=BB6_222 Depth=2
	ds_load_b64 v[9:10], v0
	v_add_co_u32 v48, vcc_lo, v48, v97
	v_add_co_ci_u32_e32 v49, vcc_lo, 0, v49, vcc_lo
	s_mov_b32 s18, exec_lo
	s_waitcnt lgkmcnt(0)
	s_delay_alu instid0(VALU_DEP_1)
	v_cmpx_lt_u64_e64 v[9:10], v[48:49]
	s_cbranch_execz .LBB6_290
; %bb.280:                              ;   in Loop: Header=BB6_222 Depth=2
	s_mov_b32 s19, 0
	s_mov_b32 s25, 0
                                        ; implicit-def: $sgpr20
                                        ; implicit-def: $sgpr22
	s_branch .LBB6_282
.LBB6_281:                              ;   in Loop: Header=BB6_282 Depth=3
	s_or_b32 exec_lo, exec_lo, vcc_hi
	s_delay_alu instid0(SALU_CYCLE_1) | instskip(NEXT) | instid1(SALU_CYCLE_1)
	s_and_b32 s26, exec_lo, s27
	s_or_b32 s19, s26, s19
	s_and_not1_b32 s20, s20, exec_lo
	s_and_b32 s26, s22, exec_lo
	s_delay_alu instid0(SALU_CYCLE_1)
	s_or_b32 s20, s20, s26
	s_and_not1_b32 exec_lo, exec_lo, s19
	s_cbranch_execz .LBB6_288
.LBB6_282:                              ;   Parent Loop BB6_51 Depth=1
                                        ;     Parent Loop BB6_222 Depth=2
                                        ; =>    This Inner Loop Header: Depth=3
	s_add_i32 s25, s25, 1
                                        ; implicit-def: $sgpr27
	s_delay_alu instid0(SALU_CYCLE_1) | instskip(SKIP_1) | instid1(SALU_CYCLE_1)
	s_cmpk_lg_i32 s25, 0x2710
	s_cselect_b32 s26, -1, 0
	s_and_b32 vcc_lo, exec_lo, s26
	s_cbranch_vccz .LBB6_286
.LBB6_283:                              ;   in Loop: Header=BB6_282 Depth=3
	s_and_not1_b32 s22, s22, exec_lo
	s_and_b32 vcc_lo, s27, exec_lo
	s_mov_b32 s27, -1
	s_or_b32 s22, s22, vcc_lo
	s_and_saveexec_b32 vcc_hi, s26
	s_cbranch_execz .LBB6_281
; %bb.284:                              ;   in Loop: Header=BB6_282 Depth=3
	s_sleep 1
	s_cbranch_execnz .LBB6_1550
; %bb.285:                              ;   in Loop: Header=BB6_282 Depth=3
	ds_load_b64 v[9:10], v0
	s_and_not1_b32 s22, s22, exec_lo
	s_waitcnt lgkmcnt(0)
	v_cmp_ge_u64_e32 vcc_lo, v[9:10], v[48:49]
	s_or_not1_b32 s27, vcc_lo, exec_lo
	s_branch .LBB6_281
.LBB6_286:                              ;   in Loop: Header=BB6_282 Depth=3
	s_cbranch_execnz .LBB6_1562
; %bb.287:                              ;   in Loop: Header=BB6_282 Depth=3
	ds_load_b64 v[9:10], v0
	s_and_not1_b32 s26, s26, exec_lo
	s_mov_b32 s25, 0
	s_mov_b32 s27, -1
	s_waitcnt lgkmcnt(0)
	s_waitcnt_vscnt null, 0x0
	flat_load_b32 v2, v[9:10] glc
	s_waitcnt vmcnt(0) lgkmcnt(0)
	buffer_gl1_inv
	buffer_gl0_inv
	v_cmp_eq_u32_e32 vcc_lo, 0, v2
	s_and_b32 vcc_lo, vcc_lo, exec_lo
	s_delay_alu instid0(SALU_CYCLE_1)
	s_or_b32 s26, s26, vcc_lo
	s_branch .LBB6_283
.LBB6_288:                              ;   in Loop: Header=BB6_222 Depth=2
	s_or_b32 exec_lo, exec_lo, s19
	s_and_saveexec_b32 s19, s20
	s_delay_alu instid0(SALU_CYCLE_1)
	s_xor_b32 s19, exec_lo, s19
	s_cbranch_execz .LBB6_290
; %bb.289:                              ;   in Loop: Header=BB6_222 Depth=2
	ds_store_b32 v0, v144
	s_cbranch_execnz .LBB6_1776
.LBB6_290:                              ;   in Loop: Header=BB6_222 Depth=2
	s_or_b32 exec_lo, exec_lo, s18
	;;#ASMSTART
	s_wakeup
	;;#ASMEND
.LBB6_291:                              ;   in Loop: Header=BB6_222 Depth=2
	s_or_b32 exec_lo, exec_lo, s17
.LBB6_292:                              ;   in Loop: Header=BB6_222 Depth=2
	s_and_not1_saveexec_b32 s16, s16
	s_cbranch_execz .LBB6_294
; %bb.293:                              ;   in Loop: Header=BB6_222 Depth=2
	;;#ASMSTART
	s_waitcnt lgkmcnt(0) vmcnt(0)
	;;#ASMEND
	s_waitcnt lgkmcnt(0)
	s_waitcnt_vscnt null, 0x0
	s_barrier
.LBB6_294:                              ;   in Loop: Header=BB6_222 Depth=2
	s_or_b32 exec_lo, exec_lo, s16
	v_and_b32_e32 v2, 16, v30
.LBB6_295:                              ;   in Loop: Header=BB6_222 Depth=2
	s_or_b32 exec_lo, exec_lo, s13
	s_delay_alu instid0(SALU_CYCLE_1) | instskip(NEXT) | instid1(VALU_DEP_1)
	s_mov_b32 s13, exec_lo
	v_cmpx_ne_u32_e32 0, v2
	s_cbranch_execz .LBB6_299
; %bb.296:                              ;   in Loop: Header=BB6_222 Depth=2
	s_and_saveexec_b32 s16, s11
	s_cbranch_execz .LBB6_298
; %bb.297:                              ;   in Loop: Header=BB6_222 Depth=2
	s_waitcnt lgkmcnt(0)
	s_waitcnt_vscnt null, 0x0
	flat_store_b32 v[38:39], v144
.LBB6_298:                              ;   in Loop: Header=BB6_222 Depth=2
	s_or_b32 exec_lo, exec_lo, s16
	v_add_co_u32 v34, vcc_lo, v34, 2
	v_add_co_ci_u32_e32 v35, vcc_lo, 0, v35, vcc_lo
	s_waitcnt lgkmcnt(0)
	s_waitcnt_vscnt null, 0x0
	flat_store_b64 v[32:33], v[34:35]
.LBB6_299:                              ;   in Loop: Header=BB6_222 Depth=2
	s_or_b32 exec_lo, exec_lo, s13
	v_add_nc_u32_e32 v17, v8, v17
	s_mov_b32 s13, 0
	s_and_not1_b32 exec_lo, exec_lo, s15
	s_cbranch_execnz .LBB6_222
; %bb.300:                              ;   in Loop: Header=BB6_51 Depth=1
	s_or_b32 exec_lo, exec_lo, s15
.LBB6_301:                              ;   in Loop: Header=BB6_51 Depth=1
	s_delay_alu instid0(SALU_CYCLE_1) | instskip(NEXT) | instid1(SALU_CYCLE_1)
	s_or_b32 exec_lo, exec_lo, s14
	s_and_not1_b32 vcc_lo, exec_lo, s44
	s_cbranch_vccnz .LBB6_556
; %bb.302:                              ;   in Loop: Header=BB6_51 Depth=1
	s_mov_b32 s15, 2
.LBB6_303:                              ;   Parent Loop BB6_51 Depth=1
                                        ; =>  This Loop Header: Depth=2
                                        ;       Child Loop BB6_305 Depth 3
                                        ;         Child Loop BB6_314 Depth 4
                                        ;         Child Loop BB6_346 Depth 4
	;; [unrolled: 1-line block ×9, first 2 shown]
                                        ;       Child Loop BB6_473 Depth 3
                                        ;         Child Loop BB6_479 Depth 4
                                        ;         Child Loop BB6_509 Depth 4
	;; [unrolled: 1-line block ×3, first 2 shown]
	s_delay_alu instid0(SALU_CYCLE_1) | instskip(SKIP_4) | instid1(SALU_CYCLE_1)
	s_sub_i32 s13, s42, s15
	s_mov_b32 s17, 0
	s_cmp_le_i32 s23, s13
	v_mov_b32_e32 v19, 0
	s_cselect_b32 s14, s23, 0
	s_sub_i32 s13, s13, s14
	s_delay_alu instid0(SALU_CYCLE_1) | instskip(SKIP_3) | instid1(VALU_DEP_1)
	s_ashr_i32 s14, s13, 31
	v_mul_lo_u32 v2, v65, s13
	v_mad_u64_u32 v[10:11], null, v64, s13, 0
	v_mul_lo_u32 v8, v64, s14
	v_add3_u32 v11, v11, v8, v2
	s_delay_alu instid0(VALU_DEP_3) | instskip(NEXT) | instid1(VALU_DEP_2)
	v_sub_co_u32 v8, vcc_lo, v66, v10
	v_sub_co_ci_u32_e32 v9, vcc_lo, v67, v11, vcc_lo
	s_delay_alu instid0(VALU_DEP_1) | instskip(SKIP_1) | instid1(VALU_DEP_1)
	v_cmp_lt_i64_e32 vcc_lo, v[64:65], v[8:9]
	v_cndmask_b32_e32 v8, v8, v64, vcc_lo
	v_max_i32_e32 v18, 0, v8
	s_delay_alu instid0(VALU_DEP_1) | instskip(NEXT) | instid1(VALU_DEP_1)
	v_add_nc_u32_e32 v2, 31, v18
	v_lshrrev_b32_e32 v2, 1, v2
	s_delay_alu instid0(VALU_DEP_1) | instskip(SKIP_2) | instid1(VALU_DEP_3)
	v_and_b32_e32 v9, 0x3ffffff0, v2
	v_cmp_lt_i32_e32 vcc_lo, 0, v8
	v_mov_b32_e32 v2, 0
	v_max_i32_e32 v8, s29, v9
	s_and_b32 s13, s37, vcc_lo
	s_delay_alu instid0(SALU_CYCLE_1)
	s_and_saveexec_b32 s16, s13
	s_cbranch_execz .LBB6_471
; %bb.304:                              ;   in Loop: Header=BB6_303 Depth=2
	v_mov_b32_e32 v19, 0
	s_mov_b32 s19, 1
	s_mov_b32 s18, -1
.LBB6_305:                              ;   Parent Loop BB6_51 Depth=1
                                        ;     Parent Loop BB6_303 Depth=2
                                        ; =>    This Loop Header: Depth=3
                                        ;         Child Loop BB6_314 Depth 4
                                        ;         Child Loop BB6_346 Depth 4
	;; [unrolled: 1-line block ×9, first 2 shown]
	s_and_saveexec_b32 s13, s0
	s_cbranch_execz .LBB6_308
; %bb.306:                              ;   in Loop: Header=BB6_305 Depth=3
	s_cbranch_execnz .LBB6_1473
; %bb.307:                              ;   in Loop: Header=BB6_305 Depth=3
	ds_load_b64 v[12:13], v0
	s_waitcnt lgkmcnt(0)
	v_add_co_u32 v2, vcc_lo, v12, v145
	v_add_co_ci_u32_e32 v9, vcc_lo, v13, v146, vcc_lo
	v_ashrrev_i32_e32 v13, 31, v19
	s_delay_alu instid0(VALU_DEP_3) | instskip(NEXT) | instid1(VALU_DEP_3)
	v_add_co_u32 v2, vcc_lo, v2, v10
	v_add_co_ci_u32_e32 v9, vcc_lo, v9, v11, vcc_lo
	s_delay_alu instid0(VALU_DEP_2) | instskip(NEXT) | instid1(VALU_DEP_2)
	v_add_co_u32 v12, vcc_lo, v2, v19
	v_add_co_ci_u32_e32 v13, vcc_lo, v9, v13, vcc_lo
	v_mov_b32_e32 v2, v3
	ds_store_b64 v0, v[12:13]
	ds_store_b64 v0, v[2:3]
.LBB6_308:                              ;   in Loop: Header=BB6_305 Depth=3
	s_or_b32 exec_lo, exec_lo, s13
	v_and_b32_e32 v2, 12, v30
	s_mov_b32 s14, -1
	s_mov_b32 s13, exec_lo
	s_delay_alu instid0(VALU_DEP_1)
	v_cmpx_ne_u32_e32 0, v2
	s_cbranch_execz .LBB6_322
; %bb.309:                              ;   in Loop: Header=BB6_305 Depth=3
	v_dual_mov_b32 v9, 1 :: v_dual_and_b32 v2, 8, v30
	s_mov_b32 s14, exec_lo
	s_delay_alu instid0(VALU_DEP_1) | instskip(SKIP_3) | instid1(VALU_DEP_1)
	v_add_co_u32 v14, vcc_lo, v50, v2
	v_add_co_ci_u32_e32 v15, vcc_lo, 0, v51, vcc_lo
	v_add_co_u32 v12, vcc_lo, v34, 2
	v_add_co_ci_u32_e32 v13, vcc_lo, 0, v35, vcc_lo
	v_cmpx_lt_u64_e64 v[14:15], v[12:13]
	s_cbranch_execz .LBB6_321
; %bb.310:                              ;   in Loop: Header=BB6_305 Depth=3
	v_mov_b32_e32 v9, 0
	s_mov_b32 s20, 0
                                        ; implicit-def: $sgpr22
	s_branch .LBB6_314
.LBB6_311:                              ;   in Loop: Header=BB6_314 Depth=4
	s_or_b32 exec_lo, exec_lo, vcc_hi
	v_mov_b32_e32 v14, 0
	s_or_not1_b32 s27, s27, exec_lo
.LBB6_312:                              ;   in Loop: Header=BB6_314 Depth=4
	s_or_b32 exec_lo, exec_lo, s26
	s_delay_alu instid0(VALU_DEP_1) | instskip(SKIP_2) | instid1(SALU_CYCLE_1)
	v_mov_b32_e32 v9, v14
	s_and_not1_b32 s22, s22, exec_lo
	s_and_b32 s26, s27, exec_lo
	s_or_b32 s22, s22, s26
.LBB6_313:                              ;   in Loop: Header=BB6_314 Depth=4
	s_or_b32 exec_lo, exec_lo, s25
	s_waitcnt vmcnt(0) lgkmcnt(0)
	v_add_co_u32 v14, vcc_lo, v50, v2
	v_add_co_ci_u32_e32 v15, vcc_lo, 0, v51, vcc_lo
	s_xor_b32 s25, s22, -1
	s_delay_alu instid0(VALU_DEP_1) | instskip(SKIP_1) | instid1(SALU_CYCLE_1)
	v_cmp_ge_u64_e32 vcc_lo, v[14:15], v[12:13]
	s_or_b32 s25, s25, vcc_lo
	s_and_b32 s25, exec_lo, s25
	s_delay_alu instid0(SALU_CYCLE_1) | instskip(NEXT) | instid1(SALU_CYCLE_1)
	s_or_b32 s20, s25, s20
	s_and_not1_b32 exec_lo, exec_lo, s20
	s_cbranch_execz .LBB6_320
.LBB6_314:                              ;   Parent Loop BB6_51 Depth=1
                                        ;     Parent Loop BB6_303 Depth=2
                                        ;       Parent Loop BB6_305 Depth=3
                                        ; =>      This Inner Loop Header: Depth=4
	s_sleep 1
	flat_load_b64 v[50:51], v[32:33] glc
	v_and_b32_e32 v14, 64, v30
	s_and_not1_b32 s22, s22, exec_lo
	s_mov_b32 s25, exec_lo
	s_delay_alu instid0(VALU_DEP_1)
	v_cmpx_eq_u32_e32 0, v14
	s_cbranch_execz .LBB6_313
; %bb.315:                              ;   in Loop: Header=BB6_314 Depth=4
	v_add_nc_u32_e32 v14, 1, v9
	s_mov_b32 s27, -1
	s_mov_b32 s26, exec_lo
	v_cmpx_lt_i32_e32 0x270e, v9
	s_cbranch_execz .LBB6_312
; %bb.316:                              ;   in Loop: Header=BB6_314 Depth=4
	s_cbranch_execnz .LBB6_1504
; %bb.317:                              ;   in Loop: Header=BB6_314 Depth=4
	ds_load_b64 v[14:15], v0
	s_mov_b32 vcc_hi, exec_lo
	s_waitcnt vmcnt(0) lgkmcnt(0)
	s_waitcnt_vscnt null, 0x0
	flat_load_b32 v9, v[14:15] glc
	s_waitcnt vmcnt(0) lgkmcnt(0)
	buffer_gl1_inv
	buffer_gl0_inv
	v_cmpx_ne_u32_e32 0, v9
	s_cbranch_execz .LBB6_311
; %bb.318:                              ;   in Loop: Header=BB6_314 Depth=4
	ds_store_b32 v0, v9
	s_cbranch_execnz .LBB6_1554
; %bb.319:                              ;   in Loop: Header=BB6_314 Depth=4
	v_or_b32_e32 v30, 64, v30
	s_xor_b32 s27, exec_lo, -1
	s_branch .LBB6_311
.LBB6_320:                              ;   in Loop: Header=BB6_305 Depth=3
	s_or_b32 exec_lo, exec_lo, s20
	v_and_b32_e32 v9, 12, v30
.LBB6_321:                              ;   in Loop: Header=BB6_305 Depth=3
	s_or_b32 exec_lo, exec_lo, s14
	s_delay_alu instid0(VALU_DEP_1)
	v_cmp_eq_u32_e32 vcc_lo, 0, v9
	;;#ASMSTART
	s_wakeup
	;;#ASMEND
	s_or_not1_b32 s14, vcc_lo, exec_lo
.LBB6_322:                              ;   in Loop: Header=BB6_305 Depth=3
	s_or_b32 exec_lo, exec_lo, s13
	v_sub_nc_u32_e32 v2, v18, v19
	s_xor_b32 s13, s14, -1
	s_delay_alu instid0(VALU_DEP_1)
	v_min_i32_e32 v8, v8, v2
	s_and_saveexec_b32 s14, s13
	s_cbranch_execz .LBB6_337
; %bb.323:                              ;   in Loop: Header=BB6_305 Depth=3
	v_and_b32_e32 v2, 0x108, v30
	s_mov_b32 s13, exec_lo
	s_delay_alu instid0(VALU_DEP_1)
	v_cmpx_ne_u32_e32 0x108, v2
	s_xor_b32 s13, exec_lo, s13
                                        ; implicit-def: $vgpr12_vgpr13
; %bb.324:                              ;   in Loop: Header=BB6_305 Depth=3
	v_and_b32_e32 v12, 7, v34
; %bb.325:                              ;   in Loop: Header=BB6_305 Depth=3
	s_and_not1_saveexec_b32 s13, s13
	s_cbranch_execz .LBB6_327
; %bb.326:                              ;   in Loop: Header=BB6_305 Depth=3
	v_and_b32_e32 v12, 7, v34
	v_ashrrev_i32_e32 v9, 31, v8
	s_delay_alu instid0(VALU_DEP_2)
	v_mad_u64_u32 v[13:14], null, v12, 24, v[6:7]
	flat_store_b64 v[13:14], v[8:9] offset:8
.LBB6_327:                              ;   in Loop: Header=BB6_305 Depth=3
	s_or_b32 exec_lo, exec_lo, s13
	v_and_b32_e32 v2, 0x100, v30
	s_mov_b32 s13, -1
	s_mov_b32 s20, exec_lo
                                        ; implicit-def: $vgpr13_vgpr14
	s_delay_alu instid0(VALU_DEP_1)
	v_cmpx_ne_u32_e32 0, v2
	s_cbranch_execnz .LBB6_330
; %bb.328:                              ;   in Loop: Header=BB6_305 Depth=3
	s_or_b32 exec_lo, exec_lo, s20
	s_and_saveexec_b32 s20, s13
	s_cbranch_execnz .LBB6_333
.LBB6_329:                              ;   in Loop: Header=BB6_305 Depth=3
	s_or_b32 exec_lo, exec_lo, s20
	s_cbranch_execnz .LBB6_1500
	s_branch .LBB6_334
.LBB6_330:                              ;   in Loop: Header=BB6_305 Depth=3
	v_mad_u64_u32 v[15:16], null, v12, 24, v[6:7]
	s_mov_b32 s22, exec_lo
	s_delay_alu instid0(VALU_DEP_1) | instskip(NEXT) | instid1(VALU_DEP_1)
	v_mov_b32_e32 v2, v16
	v_mad_u64_u32 v[13:14], null, v3, 24, v[2:3]
	s_delay_alu instid0(VALU_DEP_1)
	v_mov_b32_e32 v16, v13
                                        ; implicit-def: $vgpr13_vgpr14
	flat_load_b32 v2, v[15:16]
	s_waitcnt vmcnt(0) lgkmcnt(0)
	v_cmp_ne_u32_e32 vcc_lo, 1, v2
	v_cmpx_eq_u32_e32 1, v2
	s_cbranch_execz .LBB6_332
; %bb.331:                              ;   in Loop: Header=BB6_305 Depth=3
	flat_load_b32 v13, v[15:16] offset:4 glc
	s_waitcnt vmcnt(0) lgkmcnt(0)
	v_ashrrev_i32_e32 v14, 31, v13
.LBB6_332:                              ;   in Loop: Header=BB6_305 Depth=3
	s_or_b32 exec_lo, exec_lo, s22
	s_delay_alu instid0(SALU_CYCLE_1)
	s_or_not1_b32 s13, vcc_lo, exec_lo
	s_or_b32 exec_lo, exec_lo, s20
	s_and_saveexec_b32 s20, s13
	s_cbranch_execz .LBB6_329
.LBB6_333:                              ;   in Loop: Header=BB6_305 Depth=3
	v_mul_lo_u32 v2, v3, v86
	v_mul_lo_u32 v9, v12, v96
	v_mad_u64_u32 v[13:14], null, v12, v86, 0
	s_delay_alu instid0(VALU_DEP_1)
	v_add3_u32 v14, v14, v9, v2
	s_or_b32 exec_lo, exec_lo, s20
	s_cbranch_execnz .LBB6_1500
.LBB6_334:                              ;   in Loop: Header=BB6_305 Depth=3
	s_delay_alu instid0(VALU_DEP_2)
	v_add_co_u32 v12, vcc_lo, v36, v13
	v_and_b32_e32 v2, 0x2000, v30
	v_add_co_ci_u32_e32 v13, vcc_lo, v37, v14, vcc_lo
	s_mov_b32 s13, exec_lo
	ds_store_b64 v0, v[12:13]
	v_cmpx_ne_u32_e32 0, v2
	s_cbranch_execz .LBB6_336
; %bb.335:                              ;   in Loop: Header=BB6_305 Depth=3
	ds_load_b64 v[12:13], v0 offset:584
	s_waitcnt lgkmcnt(0)
	v_add_co_u32 v12, vcc_lo, v12, 1
	v_add_co_ci_u32_e32 v13, vcc_lo, 0, v13, vcc_lo
	ds_store_b64 v0, v[12:13] offset:584
.LBB6_336:                              ;   in Loop: Header=BB6_305 Depth=3
	s_or_b32 exec_lo, exec_lo, s13
	v_add_co_u32 v34, vcc_lo, v34, 2
	v_add_co_ci_u32_e32 v35, vcc_lo, 0, v35, vcc_lo
.LBB6_337:                              ;   in Loop: Header=BB6_305 Depth=3
	s_or_b32 exec_lo, exec_lo, s14
	s_and_saveexec_b32 s13, s3
	s_cbranch_execz .LBB6_359
; %bb.338:                              ;   in Loop: Header=BB6_305 Depth=3
	s_and_saveexec_b32 s14, s4
	s_delay_alu instid0(SALU_CYCLE_1)
	s_xor_b32 s14, exec_lo, s14
	s_cbranch_execz .LBB6_356
; %bb.339:                              ;   in Loop: Header=BB6_305 Depth=3
	s_and_saveexec_b32 s20, s1
	s_cbranch_execz .LBB6_355
; %bb.340:                              ;   in Loop: Header=BB6_305 Depth=3
	s_mov_b32 s25, exec_lo
	s_mov_b32 s22, exec_lo
	v_mbcnt_lo_u32_b32 v2, s25, 0
	s_waitcnt lgkmcnt(0)
	s_waitcnt_vscnt null, 0x0
	buffer_gl1_inv
	buffer_gl0_inv
	v_cmpx_eq_u32_e32 0, v2
	s_cbranch_execz .LBB6_342
; %bb.341:                              ;   in Loop: Header=BB6_305 Depth=3
	s_bcnt1_i32_b32 s25, s25
	s_delay_alu instid0(SALU_CYCLE_1)
	v_mov_b32_e32 v2, s25
	ds_add_u64 v0, v[2:3]
	s_cbranch_execnz .LBB6_1610
.LBB6_342:                              ;   in Loop: Header=BB6_305 Depth=3
	s_or_b32 exec_lo, exec_lo, s22
	s_cbranch_execnz .LBB6_1576
; %bb.343:                              ;   in Loop: Header=BB6_305 Depth=3
	ds_load_b64 v[12:13], v0
	v_add_co_u32 v48, vcc_lo, v48, v97
	v_add_co_ci_u32_e32 v49, vcc_lo, 0, v49, vcc_lo
	s_mov_b32 s22, exec_lo
	s_waitcnt lgkmcnt(0)
	s_delay_alu instid0(VALU_DEP_1)
	v_cmpx_lt_u64_e64 v[12:13], v[48:49]
	s_cbranch_execz .LBB6_354
; %bb.344:                              ;   in Loop: Header=BB6_305 Depth=3
	s_mov_b32 s25, 0
	s_mov_b32 vcc_hi, 0
                                        ; implicit-def: $sgpr26
                                        ; implicit-def: $sgpr27
	s_branch .LBB6_346
.LBB6_345:                              ;   in Loop: Header=BB6_346 Depth=4
	s_or_b32 exec_lo, exec_lo, s46
	s_delay_alu instid0(SALU_CYCLE_1) | instskip(NEXT) | instid1(SALU_CYCLE_1)
	s_and_b32 vcc_lo, exec_lo, vcc_lo
	s_or_b32 s25, vcc_lo, s25
	s_and_not1_b32 s26, s26, exec_lo
	s_and_b32 vcc_lo, s27, exec_lo
	s_delay_alu instid0(SALU_CYCLE_1)
	s_or_b32 s26, s26, vcc_lo
	s_and_not1_b32 exec_lo, exec_lo, s25
	s_cbranch_execz .LBB6_352
.LBB6_346:                              ;   Parent Loop BB6_51 Depth=1
                                        ;     Parent Loop BB6_303 Depth=2
                                        ;       Parent Loop BB6_305 Depth=3
                                        ; =>      This Inner Loop Header: Depth=4
	s_add_i32 vcc_hi, vcc_hi, 1
                                        ; implicit-def: $sgpr46
	s_delay_alu instid0(SALU_CYCLE_1) | instskip(SKIP_1) | instid1(SALU_CYCLE_1)
	s_cmpk_lg_i32 vcc_hi, 0x2710
	s_cselect_b32 s45, -1, 0
	s_and_b32 vcc_lo, exec_lo, s45
	s_cbranch_vccz .LBB6_350
.LBB6_347:                              ;   in Loop: Header=BB6_346 Depth=4
	s_and_not1_b32 s27, s27, exec_lo
	s_and_b32 s46, s46, exec_lo
	s_mov_b32 vcc_lo, -1
	s_or_b32 s27, s27, s46
	s_and_saveexec_b32 s46, s45
	s_cbranch_execz .LBB6_345
; %bb.348:                              ;   in Loop: Header=BB6_346 Depth=4
	s_sleep 1
	s_cbranch_execnz .LBB6_1656
; %bb.349:                              ;   in Loop: Header=BB6_346 Depth=4
	ds_load_b64 v[12:13], v0
	s_and_not1_b32 s27, s27, exec_lo
	s_waitcnt lgkmcnt(0)
	v_cmp_ge_u64_e32 vcc_lo, v[12:13], v[48:49]
	s_or_not1_b32 vcc_lo, vcc_lo, exec_lo
	s_branch .LBB6_345
.LBB6_350:                              ;   in Loop: Header=BB6_346 Depth=4
	s_cbranch_execnz .LBB6_1668
; %bb.351:                              ;   in Loop: Header=BB6_346 Depth=4
	ds_load_b64 v[12:13], v0
	s_and_not1_b32 s45, s45, exec_lo
	s_mov_b32 s46, -1
	s_waitcnt lgkmcnt(0)
	flat_load_b32 v2, v[12:13] glc
	s_waitcnt vmcnt(0) lgkmcnt(0)
	buffer_gl1_inv
	buffer_gl0_inv
	v_cmp_eq_u32_e32 vcc_lo, 0, v2
	s_mov_b32 vcc_hi, 0
	s_and_b32 vcc_lo, vcc_lo, exec_lo
	s_delay_alu instid0(SALU_CYCLE_1)
	s_or_b32 s45, s45, vcc_lo
	s_branch .LBB6_347
.LBB6_352:                              ;   in Loop: Header=BB6_305 Depth=3
	s_or_b32 exec_lo, exec_lo, s25
	s_and_saveexec_b32 s25, s26
	s_delay_alu instid0(SALU_CYCLE_1)
	s_xor_b32 s25, exec_lo, s25
	s_cbranch_execz .LBB6_354
; %bb.353:                              ;   in Loop: Header=BB6_305 Depth=3
	ds_store_b32 v0, v144
	s_cbranch_execnz .LBB6_1864
.LBB6_354:                              ;   in Loop: Header=BB6_305 Depth=3
	s_or_b32 exec_lo, exec_lo, s22
	;;#ASMSTART
	s_wakeup
	;;#ASMEND
.LBB6_355:                              ;   in Loop: Header=BB6_305 Depth=3
	s_or_b32 exec_lo, exec_lo, s20
.LBB6_356:                              ;   in Loop: Header=BB6_305 Depth=3
	s_and_not1_saveexec_b32 s14, s14
	s_cbranch_execz .LBB6_358
; %bb.357:                              ;   in Loop: Header=BB6_305 Depth=3
	s_waitcnt lgkmcnt(0)
	s_waitcnt_vscnt null, 0x0
	buffer_gl1_inv
	buffer_gl0_inv
	s_barrier
.LBB6_358:                              ;   in Loop: Header=BB6_305 Depth=3
	s_or_b32 exec_lo, exec_lo, s14
.LBB6_359:                              ;   in Loop: Header=BB6_305 Depth=3
	s_delay_alu instid0(SALU_CYCLE_1)
	s_or_b32 exec_lo, exec_lo, s13
	s_cbranch_execnz .LBB6_1479
; %bb.360:                              ;   in Loop: Header=BB6_305 Depth=3
	ds_load_b32 v12, v0
	v_and_b32_e32 v2, 0x4000, v30
	s_mov_b32 vcc_hi, s44
	s_xor_b32 s13, s2, -1
	s_mov_b32 s27, s43
	s_mov_b32 s26, s42
	v_cmp_ne_u32_e32 vcc_lo, 0, v2
	s_mov_b32 s25, s41
	s_mov_b32 s22, s40
	;; [unrolled: 1-line block ×3, first 2 shown]
	s_and_b32 s14, s13, vcc_lo
	s_delay_alu instid0(SALU_CYCLE_1)
	s_and_saveexec_b32 s13, s14
	s_cbranch_execz .LBB6_382
; %bb.361:                              ;   in Loop: Header=BB6_305 Depth=3
	s_and_saveexec_b32 s14, s4
	s_delay_alu instid0(SALU_CYCLE_1)
	s_xor_b32 s14, exec_lo, s14
	s_cbranch_execz .LBB6_379
; %bb.362:                              ;   in Loop: Header=BB6_305 Depth=3
	s_and_saveexec_b32 s39, s1
	s_cbranch_execz .LBB6_378
; %bb.363:                              ;   in Loop: Header=BB6_305 Depth=3
	s_mov_b32 s41, exec_lo
	s_mov_b32 s40, exec_lo
	v_mbcnt_lo_u32_b32 v2, s41, 0
	s_waitcnt lgkmcnt(0)
	s_waitcnt_vscnt null, 0x0
	buffer_gl1_inv
	buffer_gl0_inv
	v_cmpx_eq_u32_e32 0, v2
	s_cbranch_execz .LBB6_365
; %bb.364:                              ;   in Loop: Header=BB6_305 Depth=3
	s_bcnt1_i32_b32 vcc_lo, s41
	s_delay_alu instid0(SALU_CYCLE_1)
	v_mov_b32_e32 v2, vcc_lo
	ds_add_u64 v0, v[2:3]
	s_cbranch_execnz .LBB6_1642
.LBB6_365:                              ;   in Loop: Header=BB6_305 Depth=3
	s_or_b32 exec_lo, exec_lo, s40
	s_cbranch_execnz .LBB6_1632
; %bb.366:                              ;   in Loop: Header=BB6_305 Depth=3
	ds_load_b64 v[13:14], v0
	v_add_co_u32 v48, vcc_lo, v48, v97
	v_add_co_ci_u32_e32 v49, vcc_lo, 0, v49, vcc_lo
	s_mov_b32 s40, exec_lo
	s_waitcnt lgkmcnt(0)
	s_delay_alu instid0(VALU_DEP_1)
	v_cmpx_lt_u64_e64 v[13:14], v[48:49]
	s_cbranch_execz .LBB6_377
; %bb.367:                              ;   in Loop: Header=BB6_305 Depth=3
	s_mov_b32 s41, 0
	s_mov_b32 s44, 0
                                        ; implicit-def: $sgpr42
                                        ; implicit-def: $sgpr43
	s_branch .LBB6_369
.LBB6_368:                              ;   in Loop: Header=BB6_369 Depth=4
	s_or_b32 exec_lo, exec_lo, s46
	s_delay_alu instid0(SALU_CYCLE_1) | instskip(NEXT) | instid1(SALU_CYCLE_1)
	s_and_b32 vcc_lo, exec_lo, vcc_lo
	s_or_b32 s41, vcc_lo, s41
	s_and_not1_b32 vcc_lo, s42, exec_lo
	s_and_b32 s42, s43, exec_lo
	s_delay_alu instid0(SALU_CYCLE_1)
	s_or_b32 s42, vcc_lo, s42
	s_and_not1_b32 exec_lo, exec_lo, s41
	s_cbranch_execz .LBB6_375
.LBB6_369:                              ;   Parent Loop BB6_51 Depth=1
                                        ;     Parent Loop BB6_303 Depth=2
                                        ;       Parent Loop BB6_305 Depth=3
                                        ; =>      This Inner Loop Header: Depth=4
	s_add_i32 s44, s44, 1
                                        ; implicit-def: $sgpr46
	s_delay_alu instid0(SALU_CYCLE_1) | instskip(SKIP_1) | instid1(SALU_CYCLE_1)
	s_cmpk_lg_i32 s44, 0x2710
	s_cselect_b32 s45, -1, 0
	s_and_b32 vcc_lo, exec_lo, s45
	s_cbranch_vccz .LBB6_373
.LBB6_370:                              ;   in Loop: Header=BB6_369 Depth=4
	s_and_not1_b32 s43, s43, exec_lo
	s_and_b32 s46, s46, exec_lo
	s_mov_b32 vcc_lo, -1
	s_or_b32 s43, s43, s46
	s_and_saveexec_b32 s46, s45
	s_cbranch_execz .LBB6_368
; %bb.371:                              ;   in Loop: Header=BB6_369 Depth=4
	s_sleep 1
	s_cbranch_execnz .LBB6_1708
; %bb.372:                              ;   in Loop: Header=BB6_369 Depth=4
	ds_load_b64 v[13:14], v0
	s_and_not1_b32 s43, s43, exec_lo
	s_waitcnt lgkmcnt(0)
	v_cmp_ge_u64_e32 vcc_lo, v[13:14], v[48:49]
	s_or_not1_b32 vcc_lo, vcc_lo, exec_lo
	s_branch .LBB6_368
.LBB6_373:                              ;   in Loop: Header=BB6_369 Depth=4
	s_cbranch_execnz .LBB6_1722
; %bb.374:                              ;   in Loop: Header=BB6_369 Depth=4
	ds_load_b64 v[13:14], v0
	s_and_not1_b32 s45, s45, exec_lo
	s_mov_b32 s44, 0
	s_mov_b32 s46, -1
	s_waitcnt lgkmcnt(0)
	flat_load_b32 v2, v[13:14] glc
	s_waitcnt vmcnt(0) lgkmcnt(0)
	buffer_gl1_inv
	buffer_gl0_inv
	v_cmp_eq_u32_e32 vcc_lo, 0, v2
	s_and_b32 vcc_lo, vcc_lo, exec_lo
	s_delay_alu instid0(SALU_CYCLE_1)
	s_or_b32 s45, s45, vcc_lo
	s_branch .LBB6_370
.LBB6_375:                              ;   in Loop: Header=BB6_305 Depth=3
	s_or_b32 exec_lo, exec_lo, s41
	s_and_saveexec_b32 vcc_lo, s42
	s_delay_alu instid0(SALU_CYCLE_1)
	s_xor_b32 vcc_lo, exec_lo, vcc_lo
	s_cbranch_execz .LBB6_377
; %bb.376:                              ;   in Loop: Header=BB6_305 Depth=3
	ds_store_b32 v0, v144
	s_cbranch_execnz .LBB6_1900
.LBB6_377:                              ;   in Loop: Header=BB6_305 Depth=3
	s_or_b32 exec_lo, exec_lo, s40
	;;#ASMSTART
	s_wakeup
	;;#ASMEND
.LBB6_378:                              ;   in Loop: Header=BB6_305 Depth=3
	s_or_b32 exec_lo, exec_lo, s39
.LBB6_379:                              ;   in Loop: Header=BB6_305 Depth=3
	s_and_not1_saveexec_b32 s14, s14
	s_cbranch_execz .LBB6_381
; %bb.380:                              ;   in Loop: Header=BB6_305 Depth=3
	s_waitcnt lgkmcnt(0)
	s_waitcnt_vscnt null, 0x0
	buffer_gl1_inv
	buffer_gl0_inv
	s_barrier
.LBB6_381:                              ;   in Loop: Header=BB6_305 Depth=3
	s_or_b32 exec_lo, exec_lo, s14
.LBB6_382:                              ;   in Loop: Header=BB6_305 Depth=3
	s_delay_alu instid0(SALU_CYCLE_1)
	s_or_b32 exec_lo, exec_lo, s13
	s_cbranch_execnz .LBB6_1522
; %bb.383:                              ;   in Loop: Header=BB6_305 Depth=3
	ds_load_b64 v[13:14], v0
	v_mov_b32_e32 v9, 0
	s_waitcnt lgkmcnt(0)
	v_cmp_eq_u64_e32 vcc_lo, 0, v[13:14]
	s_or_b32 s13, vcc_lo, vcc_lo
	s_delay_alu instid0(SALU_CYCLE_1)
	s_and_b32 vcc_lo, exec_lo, s13
	s_cbranch_vccnz .LBB6_417
; %bb.384:                              ;   in Loop: Header=BB6_305 Depth=3
	s_mov_b32 s13, -1
	s_and_saveexec_b32 s14, s12
	s_cbranch_execz .LBB6_386
; %bb.385:                              ;   in Loop: Header=BB6_305 Depth=3
	ds_load_b32 v2, v0 offset:720
	s_waitcnt lgkmcnt(0)
	v_and_b32_e32 v2, 15, v2
	s_delay_alu instid0(VALU_DEP_1)
	v_cmp_eq_u32_e32 vcc_lo, 0, v2
	s_or_not1_b32 s13, vcc_lo, exec_lo
.LBB6_386:                              ;   in Loop: Header=BB6_305 Depth=3
	s_or_b32 exec_lo, exec_lo, s14
	s_and_saveexec_b32 s14, s6
	s_cbranch_execz .LBB6_388
; %bb.387:                              ;   in Loop: Header=BB6_305 Depth=3
	ds_load_b32 v2, v0 offset:784
	s_waitcnt lgkmcnt(0)
	v_and_b32_e32 v2, 15, v2
	s_delay_alu instid0(VALU_DEP_1) | instskip(SKIP_3) | instid1(SALU_CYCLE_1)
	v_cmp_eq_u32_e32 vcc_lo, 0, v2
	s_and_b32 vcc_lo, s13, vcc_lo
	s_and_not1_b32 s13, s13, exec_lo
	s_and_b32 vcc_lo, vcc_lo, exec_lo
	s_or_b32 s13, s13, vcc_lo
.LBB6_388:                              ;   in Loop: Header=BB6_305 Depth=3
	s_or_b32 exec_lo, exec_lo, s14
	v_cmp_eq_u32_e32 vcc_lo, 0, v12
	s_xor_b32 s13, s13, -1
	v_mov_b32_e32 v12, v98
	v_cndmask_b32_e64 v2, 0, 1, s13
	;;#ASMSTART
	;;#ASMEND
	v_cndmask_b32_e32 v9, 0, v8, vcc_lo
	s_delay_alu instid0(VALU_DEP_2) | instskip(SKIP_2) | instid1(VALU_DEP_3)
	v_cmp_ne_u32_e32 vcc_lo, 0, v2
	v_mov_b32_e32 v2, 0
	s_mov_b32 s13, -1
	v_dual_mov_b32 v21, v0 :: v_dual_mov_b32 v20, v9
	s_cbranch_vccnz .LBB6_404
; %bb.389:                              ;   in Loop: Header=BB6_305 Depth=3
	v_ashrrev_i32_e32 v2, 31, v9
	s_mov_b32 s14, exec_lo
	s_delay_alu instid0(VALU_DEP_1) | instskip(NEXT) | instid1(VALU_DEP_1)
	v_lshrrev_b32_e32 v2, 21, v2
	v_add_nc_u32_e32 v2, v9, v2
	s_delay_alu instid0(VALU_DEP_1) | instskip(NEXT) | instid1(VALU_DEP_1)
	v_ashrrev_i32_e32 v2, 11, v2
	v_sub_nc_u32_e32 v22, v2, v98
	s_delay_alu instid0(VALU_DEP_1)
	v_cmpx_lt_i32_e32 0, v22
	s_cbranch_execz .LBB6_394
; %bb.390:                              ;   in Loop: Header=BB6_305 Depth=3
	s_cbranch_execnz .LBB6_1672
; %bb.391:                              ;   in Loop: Header=BB6_305 Depth=3
	ds_load_b128 v[12:15], v0
	ds_load_b64 v[16:17], v0
	s_mov_b32 s39, 0
	s_waitcnt lgkmcnt(1)
	v_add_co_u32 v12, vcc_lo, v12, v132
	v_add_co_ci_u32_e32 v13, vcc_lo, v13, v133, vcc_lo
	v_add_co_u32 v14, vcc_lo, v14, v132
	v_add_co_ci_u32_e32 v15, vcc_lo, v15, v133, vcc_lo
	s_waitcnt lgkmcnt(0)
	v_add_co_u32 v16, vcc_lo, v16, v132
	v_add_co_ci_u32_e32 v17, vcc_lo, v17, v133, vcc_lo
.LBB6_392:                              ;   Parent Loop BB6_51 Depth=1
                                        ;     Parent Loop BB6_303 Depth=2
                                        ;       Parent Loop BB6_305 Depth=3
                                        ; =>      This Inner Loop Header: Depth=4
	global_load_b128 v[68:71], v[12:13], off slc dlc
	global_load_b128 v[80:83], v[14:15], off slc dlc
	global_load_b128 v[147:150], v[12:13], off offset:512 slc dlc
	global_load_b128 v[160:163], v[14:15], off offset:512 slc dlc
	;; [unrolled: 1-line block ×6, first 2 shown]
	v_add_co_u32 v12, vcc_lo, v12, v134
	v_sub_nc_u32_e32 v22, v22, v97
	v_add_co_ci_u32_e32 v13, vcc_lo, v13, v135, vcc_lo
	v_add_co_u32 v14, vcc_lo, v14, v134
	v_add_co_ci_u32_e32 v15, vcc_lo, v15, v135, vcc_lo
	s_delay_alu instid0(VALU_DEP_4)
	v_cmp_gt_i32_e32 vcc_lo, 1, v22
	s_or_b32 s39, vcc_lo, s39
	s_waitcnt vmcnt(7)
	v_and_b32_e32 v20, 0xff00ff, v68
	s_waitcnt vmcnt(6)
	v_and_b32_e32 v21, 0xff00ff, v80
	v_and_b32_e32 v23, 0xff00ff00, v68
	v_and_b32_e32 v68, 0xff00ff00, v80
	v_and_b32_e32 v80, 0xff00ff, v69
	v_and_b32_e32 v84, 0xff00ff, v81
	v_and_b32_e32 v69, 0xff00ff00, v69
	v_and_b32_e32 v81, 0xff00ff00, v81
	v_and_b32_e32 v85, 0xff00ff, v70
	v_and_b32_e32 v151, 0xff00ff, v82
	v_and_b32_e32 v70, 0xff00ff00, v70
	v_and_b32_e32 v82, 0xff00ff00, v82
	v_and_b32_e32 v44, 0xff00ff, v71
	v_and_b32_e32 v45, 0xff00ff, v83
	v_and_b32_e32 v71, 0xff00ff00, v71
	v_and_b32_e32 v83, 0xff00ff00, v83
	s_waitcnt vmcnt(5)
	v_and_b32_e32 v46, 0xff00ff, v147
	s_waitcnt vmcnt(4)
	v_and_b32_e32 v47, 0xff00ff, v160
	v_and_b32_e32 v147, 0xff00ff00, v147
	v_and_b32_e32 v160, 0xff00ff00, v160
	v_and_b32_e32 v56, 0xff00ff, v148
	v_and_b32_e32 v57, 0xff00ff, v161
	v_and_b32_e32 v148, 0xff00ff00, v148
	v_and_b32_e32 v161, 0xff00ff00, v161
	v_and_b32_e32 v58, 0xff00ff, v149
	v_and_b32_e32 v59, 0xff00ff, v162
	v_and_b32_e32 v149, 0xff00ff00, v149
	v_and_b32_e32 v162, 0xff00ff00, v162
	v_and_b32_e32 v60, 0xff00ff, v150
	v_and_b32_e32 v61, 0xff00ff, v163
	v_and_b32_e32 v150, 0xff00ff00, v150
	v_and_b32_e32 v163, 0xff00ff00, v163
	;; [unrolled: 18-line block ×4, first 2 shown]
	v_add_nc_u32_e32 v20, v21, v20
	v_add_nc_u32_e32 v21, v68, v23
	;; [unrolled: 1-line block ×32, first 2 shown]
	v_perm_b32 v68, v21, v20, 0x7020500
	v_perm_b32 v69, v69, v23, 0x7020500
	;; [unrolled: 1-line block ×16, first 2 shown]
	s_clause 0x3
	global_store_b128 v[16:17], v[68:71], off glc slc dlc
	global_store_b128 v[16:17], v[80:83], off offset:512 glc slc dlc
	global_store_b128 v[16:17], v[147:150], off offset:1024 glc slc dlc
	;; [unrolled: 1-line block ×3, first 2 shown]
	v_add_co_u32 v16, s13, v16, v134
	s_delay_alu instid0(VALU_DEP_1)
	v_add_co_ci_u32_e64 v17, s13, v17, v135, s13
	s_and_not1_b32 exec_lo, exec_lo, s39
	s_cbranch_execnz .LBB6_392
; %bb.393:                              ;   in Loop: Header=BB6_305 Depth=3
	s_or_b32 exec_lo, exec_lo, s39
.LBB6_394:                              ;   in Loop: Header=BB6_305 Depth=3
	s_delay_alu instid0(SALU_CYCLE_1) | instskip(SKIP_3) | instid1(VALU_DEP_1)
	s_or_b32 exec_lo, exec_lo, s14
	v_dual_mov_b32 v2, 0 :: v_dual_lshlrev_b32 v23, 11, v2
	s_mov_b32 s13, 0
	s_mov_b32 s39, exec_lo
                                        ; implicit-def: $vgpr20
                                        ; implicit-def: $vgpr21
                                        ; implicit-def: $vgpr12
	v_cmpx_ne_u32_e64 v9, v23
	s_cbranch_execz .LBB6_403
; %bb.395:                              ;   in Loop: Header=BB6_305 Depth=3
	v_lshlrev_b32_e32 v2, 5, v22
	v_sub_nc_u32_e32 v13, v9, v23
	s_mov_b32 s40, exec_lo
	s_delay_alu instid0(VALU_DEP_2) | instskip(NEXT) | instid1(VALU_DEP_2)
	v_sub_nc_u32_e32 v2, v99, v2
	v_ashrrev_i32_e32 v14, 31, v13
	s_delay_alu instid0(VALU_DEP_2) | instskip(NEXT) | instid1(VALU_DEP_2)
	v_ashrrev_i32_e32 v12, 31, v2
	v_lshrrev_b32_e32 v14, 23, v14
	s_delay_alu instid0(VALU_DEP_2) | instskip(NEXT) | instid1(VALU_DEP_2)
	v_lshrrev_b32_e32 v12, 27, v12
	v_add_nc_u32_e32 v14, v13, v14
	s_delay_alu instid0(VALU_DEP_2) | instskip(NEXT) | instid1(VALU_DEP_2)
	v_add_nc_u32_e32 v12, v2, v12
	v_and_b32_e32 v22, 0xfffffe00, v14
	v_ashrrev_i32_e32 v14, 9, v14
	s_delay_alu instid0(VALU_DEP_3) | instskip(NEXT) | instid1(VALU_DEP_3)
	v_and_b32_e32 v15, 0xffffffe0, v12
	v_sub_nc_u32_e32 v69, v13, v22
	s_delay_alu instid0(VALU_DEP_2) | instskip(SKIP_1) | instid1(VALU_DEP_3)
	v_sub_nc_u32_e32 v68, v2, v15
	v_ashrrev_i32_e32 v15, 5, v12
	v_cmp_lt_i32_e32 vcc_lo, 15, v69
	s_delay_alu instid0(VALU_DEP_3) | instskip(SKIP_1) | instid1(VALU_DEP_2)
	v_lshlrev_b32_e32 v2, 4, v68
	v_add_co_ci_u32_e64 v14, s13, 0, v14, vcc_lo
	v_lshl_add_u32 v12, v15, 9, v2
	s_delay_alu instid0(VALU_DEP_2) | instskip(NEXT) | instid1(VALU_DEP_2)
	v_sub_nc_u32_e32 v70, v14, v15
	v_sub_nc_u32_e32 v2, v13, v12
	s_delay_alu instid0(VALU_DEP_1)
	v_cmpx_lt_i32_e32 15, v2
	s_cbranch_execz .LBB6_400
; %bb.396:                              ;   in Loop: Header=BB6_305 Depth=3
	s_cbranch_execnz .LBB6_1738
; %bb.397:                              ;   in Loop: Header=BB6_305 Depth=3
	ds_load_b128 v[13:16], v0
	ds_load_b64 v[20:21], v0
	v_add_nc_u32_e32 v17, v12, v23
	s_mov_b32 s41, 0
	s_delay_alu instid0(VALU_DEP_1) | instskip(SKIP_2) | instid1(VALU_DEP_1)
	v_ashrrev_i32_e32 v71, 31, v17
	s_waitcnt lgkmcnt(1)
	v_add_co_u32 v12, s13, v13, v17
	v_add_co_ci_u32_e64 v13, s13, v14, v71, s13
	v_add_co_u32 v14, s13, v15, v17
	s_delay_alu instid0(VALU_DEP_1) | instskip(SKIP_2) | instid1(VALU_DEP_1)
	v_add_co_ci_u32_e64 v15, s13, v16, v71, s13
	s_waitcnt lgkmcnt(0)
	v_add_co_u32 v16, s13, v20, v17
	v_add_co_ci_u32_e64 v17, s13, v21, v71, s13
.LBB6_398:                              ;   Parent Loop BB6_51 Depth=1
                                        ;     Parent Loop BB6_303 Depth=2
                                        ;       Parent Loop BB6_305 Depth=3
                                        ; =>      This Inner Loop Header: Depth=4
	global_load_b128 v[80:83], v[12:13], off slc dlc
	global_load_b128 v[147:150], v[14:15], off slc dlc
	v_add_co_u32 v12, s13, v12, v116
	v_sub_nc_u32_e32 v2, v2, v100
	v_add_co_ci_u32_e64 v13, s13, v13, v117, s13
	v_add_co_u32 v14, s13, v14, v116
	s_delay_alu instid0(VALU_DEP_1) | instskip(NEXT) | instid1(VALU_DEP_4)
	v_add_co_ci_u32_e64 v15, s13, v15, v117, s13
	v_cmp_gt_i32_e64 s13, 16, v2
	v_sub_nc_u32_e32 v70, v70, v97
	s_delay_alu instid0(VALU_DEP_2)
	s_or_b32 s41, s13, s41
	s_waitcnt vmcnt(1)
	v_and_b32_e32 v20, 0xff00ff, v80
	s_waitcnt vmcnt(0)
	v_and_b32_e32 v21, 0xff00ff, v147
	v_and_b32_e32 v71, 0xff00ff00, v80
	;; [unrolled: 1-line block ×15, first 2 shown]
	v_add_nc_u32_e32 v20, v21, v20
	v_add_nc_u32_e32 v21, v80, v71
	;; [unrolled: 1-line block ×8, first 2 shown]
	v_perm_b32 v80, v21, v20, 0x7020500
	v_perm_b32 v81, v81, v71, 0x7020500
	;; [unrolled: 1-line block ×3, first 2 shown]
	s_delay_alu instid0(VALU_DEP_4) | instskip(SKIP_2) | instid1(VALU_DEP_1)
	v_perm_b32 v83, v83, v85, 0x7020500
	global_store_b128 v[16:17], v[80:83], off glc slc dlc
	v_add_co_u32 v16, s14, v16, v116
	v_add_co_ci_u32_e64 v17, s14, v17, v117, s14
	s_and_not1_b32 exec_lo, exec_lo, s41
	s_cbranch_execnz .LBB6_398
; %bb.399:                              ;   in Loop: Header=BB6_305 Depth=3
	s_or_b32 exec_lo, exec_lo, s41
.LBB6_400:                              ;   in Loop: Header=BB6_305 Depth=3
	s_delay_alu instid0(SALU_CYCLE_1) | instskip(SKIP_3) | instid1(VALU_DEP_1)
	s_or_b32 exec_lo, exec_lo, s40
	v_dual_mov_b32 v2, 0 :: v_dual_and_b32 v13, 15, v9
	s_mov_b32 s14, 0
	s_mov_b32 s40, exec_lo
                                        ; implicit-def: $vgpr21
                                        ; implicit-def: $vgpr12
	v_cndmask_b32_e32 v20, v69, v13, vcc_lo
	s_delay_alu instid0(VALU_DEP_1)
	v_cmpx_ne_u32_e32 0, v20
; %bb.401:                              ;   in Loop: Header=BB6_305 Depth=3
	v_cmp_lt_i32_e64 s13, 0, v70
	v_sub_nc_u32_e32 v12, v69, v13
	s_mov_b32 s14, exec_lo
	s_delay_alu instid0(VALU_DEP_2) | instskip(NEXT) | instid1(VALU_DEP_1)
	v_cndmask_b32_e64 v2, 0, v97, s13
	v_sub_nc_u32_e32 v2, v2, v70
	s_delay_alu instid0(VALU_DEP_1) | instskip(NEXT) | instid1(VALU_DEP_1)
	v_lshl_add_u32 v21, v2, 5, v68
	v_ashrrev_i32_e32 v2, 31, v21
	s_delay_alu instid0(VALU_DEP_1) | instskip(NEXT) | instid1(VALU_DEP_1)
	v_lshrrev_b32_e32 v2, 27, v2
	v_dual_cndmask_b32 v12, 0, v12 :: v_dual_add_nc_u32 v13, v21, v2
	s_delay_alu instid0(VALU_DEP_1) | instskip(NEXT) | instid1(VALU_DEP_2)
	v_add3_u32 v2, v22, v23, v12
	v_ashrrev_i32_e32 v12, 5, v13
; %bb.402:                              ;   in Loop: Header=BB6_305 Depth=3
	s_or_b32 exec_lo, exec_lo, s40
	s_delay_alu instid0(SALU_CYCLE_1)
	s_and_b32 s13, s14, exec_lo
.LBB6_403:                              ;   in Loop: Header=BB6_305 Depth=3
	s_or_b32 exec_lo, exec_lo, s39
.LBB6_404:                              ;   in Loop: Header=BB6_305 Depth=3
	s_and_saveexec_b32 s14, s13
	s_cbranch_execz .LBB6_416
; %bb.405:                              ;   in Loop: Header=BB6_305 Depth=3
	s_delay_alu instid0(VALU_DEP_1) | instskip(SKIP_1) | instid1(VALU_DEP_1)
	v_ashrrev_i32_e32 v13, 31, v20
	s_mov_b32 s13, exec_lo
	v_lshrrev_b32_e32 v13, 22, v13
	s_delay_alu instid0(VALU_DEP_1) | instskip(NEXT) | instid1(VALU_DEP_1)
	v_add_nc_u32_e32 v13, v20, v13
	v_ashrrev_i32_e32 v23, 10, v13
	s_delay_alu instid0(VALU_DEP_1) | instskip(NEXT) | instid1(VALU_DEP_1)
	v_sub_nc_u32_e32 v22, v23, v12
	v_cmpx_lt_i32_e32 0, v22
	s_cbranch_execz .LBB6_410
; %bb.406:                              ;   in Loop: Header=BB6_305 Depth=3
	s_cbranch_execnz .LBB6_1662
; %bb.407:                              ;   in Loop: Header=BB6_305 Depth=3
	v_ashrrev_i32_e32 v13, 31, v21
	ds_load_b64 v[68:69], v0
	v_lshlrev_b32_e32 v12, 10, v12
	s_mov_b32 s39, 0
	v_lshrrev_b32_e32 v13, 27, v13
	s_delay_alu instid0(VALU_DEP_1) | instskip(NEXT) | instid1(VALU_DEP_1)
	v_add_nc_u32_e32 v13, v21, v13
	v_and_b32_e32 v17, 0xffffffe0, v13
	ds_load_b128 v[13:16], v0
	v_sub_nc_u32_e32 v17, v21, v17
	s_waitcnt lgkmcnt(1)
	v_add_co_u32 v68, vcc_lo, 0x3e0, v68
	v_add_co_ci_u32_e32 v69, vcc_lo, 0, v69, vcc_lo
	s_delay_alu instid0(VALU_DEP_3) | instskip(NEXT) | instid1(VALU_DEP_1)
	v_add3_u32 v17, v2, v17, v12
	v_ashrrev_i32_e32 v70, 31, v17
	s_waitcnt lgkmcnt(0)
	v_add_co_u32 v12, vcc_lo, v13, v17
	s_delay_alu instid0(VALU_DEP_2)
	v_add_co_ci_u32_e32 v13, vcc_lo, v14, v70, vcc_lo
	v_add_co_u32 v14, vcc_lo, v15, v17
	v_add_co_ci_u32_e32 v15, vcc_lo, v16, v70, vcc_lo
	v_add_co_u32 v16, vcc_lo, v68, v17
	v_add_co_ci_u32_e32 v17, vcc_lo, v69, v70, vcc_lo
.LBB6_408:                              ;   Parent Loop BB6_51 Depth=1
                                        ;     Parent Loop BB6_303 Depth=2
                                        ;       Parent Loop BB6_305 Depth=3
                                        ; =>      This Inner Loop Header: Depth=4
	s_clause 0x1f
	flat_load_u8 v68, v[12:13] slc dlc
	flat_load_u8 v69, v[12:13] offset:32 slc dlc
	flat_load_u8 v70, v[12:13] offset:64 slc dlc
	flat_load_u8 v71, v[12:13] offset:96 slc dlc
	flat_load_u8 v80, v[12:13] offset:128 slc dlc
	flat_load_u8 v81, v[12:13] offset:160 slc dlc
	flat_load_u8 v82, v[12:13] offset:192 slc dlc
	flat_load_u8 v83, v[12:13] offset:224 slc dlc
	flat_load_u8 v84, v[12:13] offset:256 slc dlc
	flat_load_u8 v85, v[12:13] offset:288 slc dlc
	flat_load_u8 v147, v[12:13] offset:320 slc dlc
	flat_load_u8 v148, v[12:13] offset:352 slc dlc
	flat_load_u8 v149, v[12:13] offset:384 slc dlc
	flat_load_u8 v150, v[12:13] offset:416 slc dlc
	flat_load_u8 v151, v[12:13] offset:448 slc dlc
	flat_load_u8 v160, v[12:13] offset:480 slc dlc
	flat_load_u8 v161, v[12:13] offset:512 slc dlc
	flat_load_u8 v162, v[12:13] offset:544 slc dlc
	flat_load_u8 v163, v[12:13] offset:576 slc dlc
	flat_load_u8 v164, v[12:13] offset:608 slc dlc
	flat_load_u8 v165, v[12:13] offset:640 slc dlc
	flat_load_u8 v166, v[12:13] offset:672 slc dlc
	flat_load_u8 v167, v[12:13] offset:704 slc dlc
	flat_load_u8 v176, v[12:13] offset:736 slc dlc
	flat_load_u8 v177, v[12:13] offset:768 slc dlc
	flat_load_u8 v178, v[12:13] offset:800 slc dlc
	flat_load_u8 v179, v[12:13] offset:832 slc dlc
	flat_load_u8 v180, v[12:13] offset:864 slc dlc
	flat_load_u8 v181, v[12:13] offset:896 slc dlc
	flat_load_u8 v182, v[12:13] offset:928 slc dlc
	flat_load_u8 v183, v[12:13] offset:960 slc dlc
	flat_load_u8 v40, v[12:13] offset:992 slc dlc
	s_clause 0x1f
	flat_load_u8 v41, v[14:15] slc dlc
	flat_load_u8 v42, v[14:15] offset:32 slc dlc
	flat_load_u8 v43, v[14:15] offset:64 slc dlc
	;; [unrolled: 1-line block ×31, first 2 shown]
	v_sub_nc_u32_e32 v22, v22, v97
	s_waitcnt vmcnt(31) lgkmcnt(31)
	v_add_nc_u16 v41, v41, v68
	s_waitcnt vmcnt(30) lgkmcnt(30)
	v_add_nc_u16 v42, v42, v69
	;; [unrolled: 2-line block ×12, first 2 shown]
	v_add_co_u32 v148, vcc_lo, 0xfffffc20, v16
	s_waitcnt vmcnt(19) lgkmcnt(19)
	v_add_nc_u16 v61, v61, v149
	v_add_co_ci_u32_e32 v149, vcc_lo, -1, v17, vcc_lo
	s_waitcnt vmcnt(18) lgkmcnt(18)
	v_add_nc_u16 v150, v62, v150
	s_waitcnt vmcnt(17) lgkmcnt(17)
	v_add_nc_u16 v151, v63, v151
	s_waitcnt vmcnt(16) lgkmcnt(16)
	v_add_nc_u16 v160, v72, v160
	flat_store_b8 v[148:149], v41 glc slc dlc
	v_add_co_u32 v148, vcc_lo, 0xfffffc40, v16
	v_add_co_ci_u32_e32 v149, vcc_lo, -1, v17, vcc_lo
	s_waitcnt vmcnt(15) lgkmcnt(16)
	v_add_nc_u16 v161, v73, v161
	s_waitcnt vmcnt(14) lgkmcnt(15)
	v_add_nc_u16 v162, v74, v162
	s_waitcnt vmcnt(13) lgkmcnt(14)
	v_add_nc_u16 v163, v75, v163
	flat_store_b8 v[148:149], v42 glc slc dlc
	v_add_co_u32 v148, vcc_lo, 0xfffffc60, v16
	;; [unrolled: 9-line block ×6, first 2 shown]
	v_add_co_ci_u32_e32 v149, vcc_lo, -1, v17, vcc_lo
	s_waitcnt vmcnt(0) lgkmcnt(6)
	v_add_nc_u16 v69, v104, v40
	flat_store_b8 v[148:149], v47 glc slc dlc
	v_add_co_u32 v148, vcc_lo, 0xfffffd00, v16
	v_add_co_ci_u32_e32 v149, vcc_lo, -1, v17, vcc_lo
	flat_store_b8 v[148:149], v56 glc slc dlc
	v_add_co_u32 v148, vcc_lo, 0xfffffd20, v16
	v_add_co_ci_u32_e32 v149, vcc_lo, -1, v17, vcc_lo
	;; [unrolled: 3-line block ×24, first 2 shown]
	v_add_co_u32 v12, vcc_lo, v12, v119
	v_add_co_ci_u32_e32 v13, vcc_lo, v13, v128, vcc_lo
	v_add_co_u32 v14, vcc_lo, v14, v119
	v_add_co_ci_u32_e32 v15, vcc_lo, v15, v128, vcc_lo
	flat_store_b8 v[70:71], v68 glc slc dlc
	flat_store_b8 v[16:17], v69 glc slc dlc
	v_add_co_u32 v16, vcc_lo, v16, v119
	v_add_co_ci_u32_e32 v17, vcc_lo, v17, v128, vcc_lo
	v_cmp_gt_i32_e32 vcc_lo, 1, v22
	s_or_b32 s39, vcc_lo, s39
	s_delay_alu instid0(SALU_CYCLE_1)
	s_and_not1_b32 exec_lo, exec_lo, s39
	s_cbranch_execnz .LBB6_408
; %bb.409:                              ;   in Loop: Header=BB6_305 Depth=3
	s_or_b32 exec_lo, exec_lo, s39
.LBB6_410:                              ;   in Loop: Header=BB6_305 Depth=3
	s_delay_alu instid0(SALU_CYCLE_1) | instskip(SKIP_2) | instid1(VALU_DEP_1)
	s_or_b32 exec_lo, exec_lo, s13
	v_lshlrev_b32_e32 v12, 10, v23
	s_mov_b32 s39, exec_lo
	v_cmpx_ne_u32_e64 v20, v12
	s_cbranch_execz .LBB6_415
; %bb.411:                              ;   in Loop: Header=BB6_305 Depth=3
	v_ashrrev_i32_e32 v13, 31, v21
	v_lshlrev_b32_e32 v14, 5, v22
	s_delay_alu instid0(VALU_DEP_2) | instskip(NEXT) | instid1(VALU_DEP_1)
	v_lshrrev_b32_e32 v13, 27, v13
	v_add_nc_u32_e32 v13, v21, v13
	s_delay_alu instid0(VALU_DEP_1) | instskip(NEXT) | instid1(VALU_DEP_1)
	v_and_b32_e32 v13, 0xffffffe0, v13
	v_sub_nc_u32_e32 v13, v21, v13
	s_delay_alu instid0(VALU_DEP_1) | instskip(NEXT) | instid1(VALU_DEP_1)
	v_sub_nc_u32_e32 v13, v13, v14
	v_add_nc_u32_e32 v12, v12, v13
	s_delay_alu instid0(VALU_DEP_1) | instskip(NEXT) | instid1(VALU_DEP_1)
	v_sub_nc_u32_e32 v20, v20, v12
	v_cmp_lt_i32_e32 vcc_lo, 0, v20
	s_and_b32 exec_lo, exec_lo, vcc_lo
	s_cbranch_execz .LBB6_415
; %bb.412:                              ;   in Loop: Header=BB6_305 Depth=3
	s_cbranch_execnz .LBB6_1730
; %bb.413:                              ;   in Loop: Header=BB6_305 Depth=3
	ds_load_b128 v[13:16], v0
	ds_load_b64 v[21:22], v0
	v_add_nc_u32_e32 v2, v12, v2
	s_mov_b32 s40, 0
	s_delay_alu instid0(VALU_DEP_1) | instskip(SKIP_2) | instid1(VALU_DEP_2)
	v_ashrrev_i32_e32 v17, 31, v2
	s_waitcnt lgkmcnt(1)
	v_add_co_u32 v12, vcc_lo, v13, v2
	v_add_co_ci_u32_e32 v13, vcc_lo, v14, v17, vcc_lo
	v_add_co_u32 v14, vcc_lo, v15, v2
	v_add_co_ci_u32_e32 v15, vcc_lo, v16, v17, vcc_lo
	s_waitcnt lgkmcnt(0)
	v_add_co_u32 v16, vcc_lo, v21, v2
	v_add_co_ci_u32_e32 v17, vcc_lo, v22, v17, vcc_lo
.LBB6_414:                              ;   Parent Loop BB6_51 Depth=1
                                        ;     Parent Loop BB6_303 Depth=2
                                        ;       Parent Loop BB6_305 Depth=3
                                        ; =>      This Inner Loop Header: Depth=4
	flat_load_u8 v2, v[12:13] slc dlc
	flat_load_u8 v21, v[14:15] slc dlc
	v_add_co_u32 v12, vcc_lo, v12, v130
	v_sub_nc_u32_e32 v20, v20, v115
	v_add_co_ci_u32_e32 v13, vcc_lo, v13, v131, vcc_lo
	v_add_co_u32 v14, vcc_lo, v14, v130
	v_add_co_ci_u32_e32 v15, vcc_lo, v15, v131, vcc_lo
	s_delay_alu instid0(VALU_DEP_4)
	v_cmp_gt_i32_e32 vcc_lo, 1, v20
	s_or_b32 s40, vcc_lo, s40
	s_waitcnt vmcnt(0) lgkmcnt(0)
	v_add_nc_u16 v2, v21, v2
	flat_store_b8 v[16:17], v2 glc slc dlc
	v_add_co_u32 v16, s13, v16, v130
	s_delay_alu instid0(VALU_DEP_1)
	v_add_co_ci_u32_e64 v17, s13, v17, v131, s13
	s_and_not1_b32 exec_lo, exec_lo, s40
	s_cbranch_execnz .LBB6_414
.LBB6_415:                              ;   in Loop: Header=BB6_305 Depth=3
	s_or_b32 exec_lo, exec_lo, s39
.LBB6_416:                              ;   in Loop: Header=BB6_305 Depth=3
	s_delay_alu instid0(SALU_CYCLE_1)
	s_or_b32 exec_lo, exec_lo, s14
.LBB6_417:                              ;   in Loop: Header=BB6_305 Depth=3
	s_and_saveexec_b32 s13, s3
	s_cbranch_execz .LBB6_439
; %bb.418:                              ;   in Loop: Header=BB6_305 Depth=3
	s_and_saveexec_b32 s14, s4
	s_delay_alu instid0(SALU_CYCLE_1)
	s_xor_b32 s14, exec_lo, s14
	s_cbranch_execz .LBB6_436
; %bb.419:                              ;   in Loop: Header=BB6_305 Depth=3
	s_and_saveexec_b32 s39, s1
	s_cbranch_execz .LBB6_435
; %bb.420:                              ;   in Loop: Header=BB6_305 Depth=3
	s_mov_b32 s41, exec_lo
	s_mov_b32 s40, exec_lo
	v_mbcnt_lo_u32_b32 v2, s41, 0
	s_waitcnt lgkmcnt(0)
	s_waitcnt_vscnt null, 0x0
	buffer_gl1_inv
	buffer_gl0_inv
	v_cmpx_eq_u32_e32 0, v2
	s_cbranch_execz .LBB6_422
; %bb.421:                              ;   in Loop: Header=BB6_305 Depth=3
	s_bcnt1_i32_b32 vcc_lo, s41
	s_delay_alu instid0(SALU_CYCLE_1)
	v_mov_b32_e32 v2, vcc_lo
	ds_add_u64 v0, v[2:3]
	s_cbranch_execnz .LBB6_1710
.LBB6_422:                              ;   in Loop: Header=BB6_305 Depth=3
	s_or_b32 exec_lo, exec_lo, s40
	s_cbranch_execnz .LBB6_1686
; %bb.423:                              ;   in Loop: Header=BB6_305 Depth=3
	ds_load_b64 v[12:13], v0
	v_add_co_u32 v48, vcc_lo, v48, v97
	v_add_co_ci_u32_e32 v49, vcc_lo, 0, v49, vcc_lo
	s_mov_b32 s40, exec_lo
	s_waitcnt lgkmcnt(0)
	s_delay_alu instid0(VALU_DEP_1)
	v_cmpx_lt_u64_e64 v[12:13], v[48:49]
	s_cbranch_execz .LBB6_434
; %bb.424:                              ;   in Loop: Header=BB6_305 Depth=3
	s_mov_b32 s41, 0
	s_mov_b32 s44, 0
                                        ; implicit-def: $sgpr42
                                        ; implicit-def: $sgpr43
	s_branch .LBB6_426
.LBB6_425:                              ;   in Loop: Header=BB6_426 Depth=4
	s_or_b32 exec_lo, exec_lo, s46
	s_delay_alu instid0(SALU_CYCLE_1) | instskip(NEXT) | instid1(SALU_CYCLE_1)
	s_and_b32 vcc_lo, exec_lo, vcc_lo
	s_or_b32 s41, vcc_lo, s41
	s_and_not1_b32 vcc_lo, s42, exec_lo
	s_and_b32 s42, s43, exec_lo
	s_delay_alu instid0(SALU_CYCLE_1)
	s_or_b32 s42, vcc_lo, s42
	s_and_not1_b32 exec_lo, exec_lo, s41
	s_cbranch_execz .LBB6_432
.LBB6_426:                              ;   Parent Loop BB6_51 Depth=1
                                        ;     Parent Loop BB6_303 Depth=2
                                        ;       Parent Loop BB6_305 Depth=3
                                        ; =>      This Inner Loop Header: Depth=4
	s_add_i32 s44, s44, 1
                                        ; implicit-def: $sgpr46
	s_delay_alu instid0(SALU_CYCLE_1) | instskip(SKIP_1) | instid1(SALU_CYCLE_1)
	s_cmpk_lg_i32 s44, 0x2710
	s_cselect_b32 s45, -1, 0
	s_and_b32 vcc_lo, exec_lo, s45
	s_cbranch_vccz .LBB6_430
.LBB6_427:                              ;   in Loop: Header=BB6_426 Depth=4
	s_and_not1_b32 s43, s43, exec_lo
	s_and_b32 s46, s46, exec_lo
	s_mov_b32 vcc_lo, -1
	s_or_b32 s43, s43, s46
	s_and_saveexec_b32 s46, s45
	s_cbranch_execz .LBB6_425
; %bb.428:                              ;   in Loop: Header=BB6_426 Depth=4
	s_sleep 1
	s_cbranch_execnz .LBB6_1764
; %bb.429:                              ;   in Loop: Header=BB6_426 Depth=4
	ds_load_b64 v[12:13], v0
	s_and_not1_b32 s43, s43, exec_lo
	s_waitcnt lgkmcnt(0)
	v_cmp_ge_u64_e32 vcc_lo, v[12:13], v[48:49]
	s_or_not1_b32 vcc_lo, vcc_lo, exec_lo
	s_branch .LBB6_425
.LBB6_430:                              ;   in Loop: Header=BB6_426 Depth=4
	s_cbranch_execnz .LBB6_1778
; %bb.431:                              ;   in Loop: Header=BB6_426 Depth=4
	ds_load_b64 v[12:13], v0
	s_and_not1_b32 s45, s45, exec_lo
	s_mov_b32 s44, 0
	s_mov_b32 s46, -1
	s_waitcnt lgkmcnt(0)
	flat_load_b32 v2, v[12:13] glc
	s_waitcnt vmcnt(0) lgkmcnt(0)
	buffer_gl1_inv
	buffer_gl0_inv
	v_cmp_eq_u32_e32 vcc_lo, 0, v2
	s_and_b32 vcc_lo, vcc_lo, exec_lo
	s_delay_alu instid0(SALU_CYCLE_1)
	s_or_b32 s45, s45, vcc_lo
	s_branch .LBB6_427
.LBB6_432:                              ;   in Loop: Header=BB6_305 Depth=3
	s_or_b32 exec_lo, exec_lo, s41
	s_and_saveexec_b32 vcc_lo, s42
	s_delay_alu instid0(SALU_CYCLE_1)
	s_xor_b32 vcc_lo, exec_lo, vcc_lo
	s_cbranch_execz .LBB6_434
; %bb.433:                              ;   in Loop: Header=BB6_305 Depth=3
	ds_store_b32 v0, v144
	s_cbranch_execnz .LBB6_1908
.LBB6_434:                              ;   in Loop: Header=BB6_305 Depth=3
	s_or_b32 exec_lo, exec_lo, s40
	;;#ASMSTART
	s_wakeup
	;;#ASMEND
.LBB6_435:                              ;   in Loop: Header=BB6_305 Depth=3
	s_or_b32 exec_lo, exec_lo, s39
.LBB6_436:                              ;   in Loop: Header=BB6_305 Depth=3
	s_and_not1_saveexec_b32 s14, s14
	s_cbranch_execz .LBB6_438
; %bb.437:                              ;   in Loop: Header=BB6_305 Depth=3
	s_waitcnt lgkmcnt(0)
	s_waitcnt_vscnt null, 0x0
	buffer_gl1_inv
	buffer_gl0_inv
	s_barrier
.LBB6_438:                              ;   in Loop: Header=BB6_305 Depth=3
	s_or_b32 exec_lo, exec_lo, s14
.LBB6_439:                              ;   in Loop: Header=BB6_305 Depth=3
	s_delay_alu instid0(SALU_CYCLE_1) | instskip(SKIP_1) | instid1(SALU_CYCLE_1)
	s_or_b32 exec_lo, exec_lo, s13
                                        ; implicit-def: $vgpr2
	s_and_saveexec_b32 s13, s7
	s_xor_b32 s14, exec_lo, s13
	s_cbranch_execz .LBB6_443
; %bb.440:                              ;   in Loop: Header=BB6_305 Depth=3
	v_and_b32_e32 v2, 16, v30
	v_cmp_lt_i32_e32 vcc_lo, 0, v9
	s_delay_alu instid0(VALU_DEP_2) | instskip(SKIP_1) | instid1(VALU_DEP_2)
	v_cmp_ne_u32_e64 s13, 0, v2
	v_and_b32_e32 v2, 16, v30
	s_and_b32 vcc_lo, s13, vcc_lo
	s_delay_alu instid0(SALU_CYCLE_1)
	s_and_saveexec_b32 s13, vcc_lo
	s_cbranch_execz .LBB6_442
; %bb.441:                              ;   in Loop: Header=BB6_305 Depth=3
	v_mov_b32_e32 v2, 1
	s_waitcnt lgkmcnt(0)
	s_waitcnt_vscnt null, 0x0
	buffer_gl1_inv
	buffer_gl0_inv
.LBB6_442:                              ;   in Loop: Header=BB6_305 Depth=3
	s_or_b32 exec_lo, exec_lo, s13
.LBB6_443:                              ;   in Loop: Header=BB6_305 Depth=3
	s_and_not1_saveexec_b32 s13, s14
	s_cbranch_execz .LBB6_465
; %bb.444:                              ;   in Loop: Header=BB6_305 Depth=3
	s_and_saveexec_b32 s14, s4
	s_delay_alu instid0(SALU_CYCLE_1)
	s_xor_b32 s14, exec_lo, s14
	s_cbranch_execz .LBB6_462
; %bb.445:                              ;   in Loop: Header=BB6_305 Depth=3
	s_and_saveexec_b32 s39, s1
	s_cbranch_execz .LBB6_461
; %bb.446:                              ;   in Loop: Header=BB6_305 Depth=3
	s_mov_b32 s41, exec_lo
	s_mov_b32 s40, exec_lo
	v_mbcnt_lo_u32_b32 v2, s41, 0
	;;#ASMSTART
	s_waitcnt lgkmcnt(0) vmcnt(0)
	;;#ASMEND
	s_delay_alu instid0(VALU_DEP_1)
	v_cmpx_eq_u32_e32 0, v2
	s_cbranch_execz .LBB6_448
; %bb.447:                              ;   in Loop: Header=BB6_305 Depth=3
	s_bcnt1_i32_b32 vcc_lo, s41
	s_delay_alu instid0(SALU_CYCLE_1)
	v_mov_b32_e32 v2, vcc_lo
	ds_add_u64 v0, v[2:3]
	s_cbranch_execnz .LBB6_1712
.LBB6_448:                              ;   in Loop: Header=BB6_305 Depth=3
	s_or_b32 exec_lo, exec_lo, s40
	s_cbranch_execnz .LBB6_1690
; %bb.449:                              ;   in Loop: Header=BB6_305 Depth=3
	ds_load_b64 v[12:13], v0
	v_add_co_u32 v48, vcc_lo, v48, v97
	v_add_co_ci_u32_e32 v49, vcc_lo, 0, v49, vcc_lo
	s_mov_b32 s40, exec_lo
	s_waitcnt lgkmcnt(0)
	s_delay_alu instid0(VALU_DEP_1)
	v_cmpx_lt_u64_e64 v[12:13], v[48:49]
	s_cbranch_execz .LBB6_460
; %bb.450:                              ;   in Loop: Header=BB6_305 Depth=3
	s_mov_b32 s41, 0
	s_mov_b32 s44, 0
                                        ; implicit-def: $sgpr42
                                        ; implicit-def: $sgpr43
	s_branch .LBB6_452
.LBB6_451:                              ;   in Loop: Header=BB6_452 Depth=4
	s_or_b32 exec_lo, exec_lo, s46
	s_delay_alu instid0(SALU_CYCLE_1) | instskip(NEXT) | instid1(SALU_CYCLE_1)
	s_and_b32 vcc_lo, exec_lo, vcc_lo
	s_or_b32 s41, vcc_lo, s41
	s_and_not1_b32 vcc_lo, s42, exec_lo
	s_and_b32 s42, s43, exec_lo
	s_delay_alu instid0(SALU_CYCLE_1)
	s_or_b32 s42, vcc_lo, s42
	s_and_not1_b32 exec_lo, exec_lo, s41
	s_cbranch_execz .LBB6_458
.LBB6_452:                              ;   Parent Loop BB6_51 Depth=1
                                        ;     Parent Loop BB6_303 Depth=2
                                        ;       Parent Loop BB6_305 Depth=3
                                        ; =>      This Inner Loop Header: Depth=4
	s_add_i32 s44, s44, 1
                                        ; implicit-def: $sgpr46
	s_delay_alu instid0(SALU_CYCLE_1) | instskip(SKIP_1) | instid1(SALU_CYCLE_1)
	s_cmpk_lg_i32 s44, 0x2710
	s_cselect_b32 s45, -1, 0
	s_and_b32 vcc_lo, exec_lo, s45
	s_cbranch_vccz .LBB6_456
.LBB6_453:                              ;   in Loop: Header=BB6_452 Depth=4
	s_and_not1_b32 s43, s43, exec_lo
	s_and_b32 s46, s46, exec_lo
	s_mov_b32 vcc_lo, -1
	s_or_b32 s43, s43, s46
	s_and_saveexec_b32 s46, s45
	s_cbranch_execz .LBB6_451
; %bb.454:                              ;   in Loop: Header=BB6_452 Depth=4
	s_sleep 1
	s_cbranch_execnz .LBB6_1766
; %bb.455:                              ;   in Loop: Header=BB6_452 Depth=4
	ds_load_b64 v[12:13], v0
	s_and_not1_b32 s43, s43, exec_lo
	s_waitcnt lgkmcnt(0)
	v_cmp_ge_u64_e32 vcc_lo, v[12:13], v[48:49]
	s_or_not1_b32 vcc_lo, vcc_lo, exec_lo
	s_branch .LBB6_451
.LBB6_456:                              ;   in Loop: Header=BB6_452 Depth=4
	s_cbranch_execnz .LBB6_1786
; %bb.457:                              ;   in Loop: Header=BB6_452 Depth=4
	ds_load_b64 v[12:13], v0
	s_and_not1_b32 s45, s45, exec_lo
	s_mov_b32 s44, 0
	s_mov_b32 s46, -1
	s_waitcnt lgkmcnt(0)
	s_waitcnt_vscnt null, 0x0
	flat_load_b32 v2, v[12:13] glc
	s_waitcnt vmcnt(0) lgkmcnt(0)
	buffer_gl1_inv
	buffer_gl0_inv
	v_cmp_eq_u32_e32 vcc_lo, 0, v2
	s_and_b32 vcc_lo, vcc_lo, exec_lo
	s_delay_alu instid0(SALU_CYCLE_1)
	s_or_b32 s45, s45, vcc_lo
	s_branch .LBB6_453
.LBB6_458:                              ;   in Loop: Header=BB6_305 Depth=3
	s_or_b32 exec_lo, exec_lo, s41
	s_and_saveexec_b32 vcc_lo, s42
	s_delay_alu instid0(SALU_CYCLE_1)
	s_xor_b32 vcc_lo, exec_lo, vcc_lo
	s_cbranch_execz .LBB6_460
; %bb.459:                              ;   in Loop: Header=BB6_305 Depth=3
	ds_store_b32 v0, v144
	s_cbranch_execnz .LBB6_1910
.LBB6_460:                              ;   in Loop: Header=BB6_305 Depth=3
	s_or_b32 exec_lo, exec_lo, s40
	;;#ASMSTART
	s_wakeup
	;;#ASMEND
.LBB6_461:                              ;   in Loop: Header=BB6_305 Depth=3
	s_or_b32 exec_lo, exec_lo, s39
.LBB6_462:                              ;   in Loop: Header=BB6_305 Depth=3
	s_and_not1_saveexec_b32 s14, s14
	s_cbranch_execz .LBB6_464
; %bb.463:                              ;   in Loop: Header=BB6_305 Depth=3
	;;#ASMSTART
	s_waitcnt lgkmcnt(0) vmcnt(0)
	;;#ASMEND
	s_waitcnt lgkmcnt(0)
	s_waitcnt_vscnt null, 0x0
	s_barrier
.LBB6_464:                              ;   in Loop: Header=BB6_305 Depth=3
	s_or_b32 exec_lo, exec_lo, s14
	v_and_b32_e32 v2, 16, v30
.LBB6_465:                              ;   in Loop: Header=BB6_305 Depth=3
	s_or_b32 exec_lo, exec_lo, s13
	s_delay_alu instid0(VALU_DEP_1) | instskip(SKIP_1) | instid1(SALU_CYCLE_1)
	v_cmp_ne_u32_e32 vcc_lo, 0, v2
	s_xor_b32 s13, s10, -1
	s_and_b32 s14, vcc_lo, s13
	s_delay_alu instid0(SALU_CYCLE_1)
	s_and_saveexec_b32 s13, s14
	s_cbranch_execz .LBB6_467
; %bb.466:                              ;   in Loop: Header=BB6_305 Depth=3
	s_waitcnt lgkmcnt(0)
	s_waitcnt_vscnt null, 0x0
	flat_store_b32 v[38:39], v144
.LBB6_467:                              ;   in Loop: Header=BB6_305 Depth=3
	s_or_b32 exec_lo, exec_lo, s13
	v_and_b32_e32 v2, 48, v30
	s_mov_b32 s13, exec_lo
	s_delay_alu instid0(VALU_DEP_1)
	v_cmpx_ne_u32_e32 0, v2
	s_cbranch_execz .LBB6_469
; %bb.468:                              ;   in Loop: Header=BB6_305 Depth=3
	v_add_co_u32 v34, vcc_lo, v34, 2
	v_add_co_ci_u32_e32 v35, vcc_lo, 0, v35, vcc_lo
	s_waitcnt lgkmcnt(0)
	s_waitcnt_vscnt null, 0x0
	flat_store_b64 v[32:33], v[34:35]
.LBB6_469:                              ;   in Loop: Header=BB6_305 Depth=3
	s_or_b32 exec_lo, exec_lo, s13
	v_dual_mov_b32 v2, s19 :: v_dual_add_nc_u32 v19, v8, v19
	s_xor_b32 s13, s18, -1
	s_mov_b32 s18, 0
	s_mov_b32 s19, 2
	s_delay_alu instid0(VALU_DEP_1)
	v_cmp_ge_i32_e32 vcc_lo, v19, v18
	s_mov_b32 s39, s20
	s_mov_b32 s40, s22
	;; [unrolled: 1-line block ×4, first 2 shown]
	s_or_b32 s13, s13, vcc_lo
	s_mov_b32 s43, s27
	s_and_b32 s13, exec_lo, s13
	s_mov_b32 s44, vcc_hi
	s_or_b32 s17, s13, s17
	s_delay_alu instid0(SALU_CYCLE_1)
	s_and_not1_b32 exec_lo, exec_lo, s17
	s_cbranch_execnz .LBB6_305
; %bb.470:                              ;   in Loop: Header=BB6_303 Depth=2
	s_or_b32 exec_lo, exec_lo, s17
.LBB6_471:                              ;   in Loop: Header=BB6_303 Depth=2
	s_delay_alu instid0(SALU_CYCLE_1) | instskip(NEXT) | instid1(SALU_CYCLE_1)
	s_or_b32 exec_lo, exec_lo, s16
	s_mov_b32 s14, exec_lo
	v_cmpx_gt_i32_e32 2, v2
	s_cbranch_execz .LBB6_555
; %bb.472:                              ;   in Loop: Header=BB6_303 Depth=2
	v_cmp_eq_u32_e64 s13, 0, v2
	s_mov_b32 s16, 0
.LBB6_473:                              ;   Parent Loop BB6_51 Depth=1
                                        ;     Parent Loop BB6_303 Depth=2
                                        ; =>    This Loop Header: Depth=3
                                        ;         Child Loop BB6_479 Depth 4
                                        ;         Child Loop BB6_509 Depth 4
	;; [unrolled: 1-line block ×3, first 2 shown]
	v_and_b32_e32 v2, 12, v30
	s_mov_b32 s18, -1
	s_mov_b32 s17, exec_lo
	s_delay_alu instid0(VALU_DEP_1)
	v_cmpx_ne_u32_e32 0, v2
	s_cbranch_execz .LBB6_487
; %bb.474:                              ;   in Loop: Header=BB6_473 Depth=3
	v_and_b32_e32 v2, 8, v30
	s_delay_alu instid0(VALU_DEP_1) | instskip(SKIP_3) | instid1(VALU_DEP_1)
	v_add_co_u32 v11, vcc_lo, v50, v2
	v_add_co_ci_u32_e32 v12, vcc_lo, 0, v51, vcc_lo
	v_add_co_u32 v9, vcc_lo, v34, 2
	v_add_co_ci_u32_e32 v10, vcc_lo, 0, v35, vcc_lo
	v_cmp_lt_u64_e32 vcc_lo, v[11:12], v[9:10]
	v_mov_b32_e32 v11, 1
	s_and_saveexec_b32 s18, vcc_lo
	s_cbranch_execz .LBB6_486
; %bb.475:                              ;   in Loop: Header=BB6_473 Depth=3
	v_mov_b32_e32 v11, 0
	s_mov_b32 s19, 0
                                        ; implicit-def: $sgpr20
	s_branch .LBB6_479
.LBB6_476:                              ;   in Loop: Header=BB6_479 Depth=4
	s_or_b32 exec_lo, exec_lo, s27
	v_mov_b32_e32 v12, 0
	s_or_not1_b32 s26, s26, exec_lo
.LBB6_477:                              ;   in Loop: Header=BB6_479 Depth=4
	s_or_b32 exec_lo, exec_lo, s25
	s_delay_alu instid0(VALU_DEP_1) | instskip(SKIP_2) | instid1(SALU_CYCLE_1)
	v_mov_b32_e32 v11, v12
	s_and_not1_b32 s20, s20, exec_lo
	s_and_b32 s25, s26, exec_lo
	s_or_b32 s20, s20, s25
.LBB6_478:                              ;   in Loop: Header=BB6_479 Depth=4
	s_or_b32 exec_lo, exec_lo, s22
	s_waitcnt vmcnt(0) lgkmcnt(0)
	v_add_co_u32 v12, vcc_lo, v50, v2
	v_add_co_ci_u32_e32 v13, vcc_lo, 0, v51, vcc_lo
	s_xor_b32 s22, s20, -1
	s_delay_alu instid0(VALU_DEP_1) | instskip(SKIP_1) | instid1(SALU_CYCLE_1)
	v_cmp_ge_u64_e32 vcc_lo, v[12:13], v[9:10]
	s_or_b32 s22, s22, vcc_lo
	s_and_b32 s22, exec_lo, s22
	s_delay_alu instid0(SALU_CYCLE_1) | instskip(NEXT) | instid1(SALU_CYCLE_1)
	s_or_b32 s19, s22, s19
	s_and_not1_b32 exec_lo, exec_lo, s19
	s_cbranch_execz .LBB6_485
.LBB6_479:                              ;   Parent Loop BB6_51 Depth=1
                                        ;     Parent Loop BB6_303 Depth=2
                                        ;       Parent Loop BB6_473 Depth=3
                                        ; =>      This Inner Loop Header: Depth=4
	s_sleep 1
	flat_load_b64 v[50:51], v[32:33] glc
	v_and_b32_e32 v12, 64, v30
	s_and_not1_b32 s20, s20, exec_lo
	s_mov_b32 s22, exec_lo
	s_delay_alu instid0(VALU_DEP_1)
	v_cmpx_eq_u32_e32 0, v12
	s_cbranch_execz .LBB6_478
; %bb.480:                              ;   in Loop: Header=BB6_479 Depth=4
	v_add_nc_u32_e32 v12, 1, v11
	s_mov_b32 s26, -1
	s_mov_b32 s25, exec_lo
	v_cmpx_lt_i32_e32 0x270e, v11
	s_cbranch_execz .LBB6_477
; %bb.481:                              ;   in Loop: Header=BB6_479 Depth=4
	s_cbranch_execnz .LBB6_1510
; %bb.482:                              ;   in Loop: Header=BB6_479 Depth=4
	ds_load_b64 v[11:12], v0
	s_mov_b32 s27, exec_lo
	s_waitcnt vmcnt(0) lgkmcnt(0)
	s_waitcnt_vscnt null, 0x0
	flat_load_b32 v11, v[11:12] glc
	s_waitcnt vmcnt(0) lgkmcnt(0)
	buffer_gl1_inv
	buffer_gl0_inv
	v_cmpx_ne_u32_e32 0, v11
	s_cbranch_execz .LBB6_476
; %bb.483:                              ;   in Loop: Header=BB6_479 Depth=4
	ds_store_b32 v0, v11
	s_cbranch_execnz .LBB6_1558
; %bb.484:                              ;   in Loop: Header=BB6_479 Depth=4
	v_or_b32_e32 v30, 64, v30
	s_xor_b32 s26, exec_lo, -1
	s_branch .LBB6_476
.LBB6_485:                              ;   in Loop: Header=BB6_473 Depth=3
	s_or_b32 exec_lo, exec_lo, s19
	v_and_b32_e32 v11, 12, v30
.LBB6_486:                              ;   in Loop: Header=BB6_473 Depth=3
	s_or_b32 exec_lo, exec_lo, s18
	s_delay_alu instid0(VALU_DEP_1)
	v_cmp_eq_u32_e32 vcc_lo, 0, v11
	;;#ASMSTART
	s_wakeup
	;;#ASMEND
	s_or_not1_b32 s18, vcc_lo, exec_lo
.LBB6_487:                              ;   in Loop: Header=BB6_473 Depth=3
	s_or_b32 exec_lo, exec_lo, s17
	v_sub_nc_u32_e32 v2, v18, v19
	s_xor_b32 s13, s13, -1
	s_delay_alu instid0(SALU_CYCLE_1) | instskip(NEXT) | instid1(SALU_CYCLE_1)
	s_and_b32 s13, exec_lo, s13
	s_or_b32 s16, s13, s16
	s_delay_alu instid0(VALU_DEP_1) | instskip(SKIP_1) | instid1(SALU_CYCLE_1)
	v_min_i32_e32 v8, v8, v2
	s_xor_b32 s13, s18, -1
	s_and_saveexec_b32 s17, s13
	s_cbranch_execz .LBB6_500
; %bb.488:                              ;   in Loop: Header=BB6_473 Depth=3
	v_and_b32_e32 v2, 0x108, v30
	s_delay_alu instid0(VALU_DEP_1) | instskip(SKIP_2) | instid1(SALU_CYCLE_1)
	v_cmp_ne_u32_e32 vcc_lo, 0x108, v2
	v_and_b32_e32 v2, 7, v34
	s_and_saveexec_b32 s13, vcc_lo
	s_xor_b32 s13, exec_lo, s13
	s_delay_alu instid0(SALU_CYCLE_1)
	s_and_not1_saveexec_b32 s13, s13
	s_cbranch_execz .LBB6_490
; %bb.489:                              ;   in Loop: Header=BB6_473 Depth=3
	v_mad_u64_u32 v[10:11], null, v2, 24, v[6:7]
	v_ashrrev_i32_e32 v9, 31, v8
	flat_store_b64 v[10:11], v[8:9] offset:8
.LBB6_490:                              ;   in Loop: Header=BB6_473 Depth=3
	s_or_b32 exec_lo, exec_lo, s13
	v_and_b32_e32 v9, 0x100, v30
	s_mov_b32 s13, -1
	s_delay_alu instid0(VALU_DEP_1)
	v_cmp_ne_u32_e32 vcc_lo, 0, v9
                                        ; implicit-def: $vgpr9_vgpr10
	s_and_saveexec_b32 s18, vcc_lo
	s_cbranch_execnz .LBB6_493
; %bb.491:                              ;   in Loop: Header=BB6_473 Depth=3
	s_or_b32 exec_lo, exec_lo, s18
	s_and_saveexec_b32 s18, s13
	s_cbranch_execnz .LBB6_496
.LBB6_492:                              ;   in Loop: Header=BB6_473 Depth=3
	s_or_b32 exec_lo, exec_lo, s18
	s_cbranch_execnz .LBB6_1502
	s_branch .LBB6_497
.LBB6_493:                              ;   in Loop: Header=BB6_473 Depth=3
	v_mad_u64_u32 v[11:12], null, v2, 24, v[6:7]
	s_delay_alu instid0(VALU_DEP_1) | instskip(NEXT) | instid1(VALU_DEP_1)
	v_mov_b32_e32 v9, v12
	v_mad_u64_u32 v[12:13], null, v3, 24, v[9:10]
	flat_load_b32 v9, v[11:12]
	s_waitcnt vmcnt(0) lgkmcnt(0)
	v_cmp_ne_u32_e32 vcc_lo, 1, v9
	v_cmp_eq_u32_e64 s13, 1, v9
                                        ; implicit-def: $vgpr9_vgpr10
	s_delay_alu instid0(VALU_DEP_1)
	s_and_saveexec_b32 s19, s13
	s_cbranch_execz .LBB6_495
; %bb.494:                              ;   in Loop: Header=BB6_473 Depth=3
	flat_load_b32 v9, v[11:12] offset:4 glc
	s_waitcnt vmcnt(0) lgkmcnt(0)
	v_ashrrev_i32_e32 v10, 31, v9
.LBB6_495:                              ;   in Loop: Header=BB6_473 Depth=3
	s_or_b32 exec_lo, exec_lo, s19
	s_delay_alu instid0(SALU_CYCLE_1)
	s_or_not1_b32 s13, vcc_lo, exec_lo
	s_or_b32 exec_lo, exec_lo, s18
	s_and_saveexec_b32 s18, s13
	s_cbranch_execz .LBB6_492
.LBB6_496:                              ;   in Loop: Header=BB6_473 Depth=3
	v_mul_lo_u32 v11, v3, v86
	v_mul_lo_u32 v12, v2, v96
	v_mad_u64_u32 v[9:10], null, v2, v86, 0
	s_delay_alu instid0(VALU_DEP_1)
	v_add3_u32 v10, v10, v12, v11
	s_or_b32 exec_lo, exec_lo, s18
	s_cbranch_execnz .LBB6_1502
.LBB6_497:                              ;   in Loop: Header=BB6_473 Depth=3
	s_delay_alu instid0(VALU_DEP_2)
	v_add_co_u32 v9, vcc_lo, v36, v9
	v_and_b32_e32 v2, 0x2000, v30
	v_add_co_ci_u32_e32 v10, vcc_lo, v37, v10, vcc_lo
	s_mov_b32 s13, exec_lo
	ds_store_b64 v0, v[9:10]
	v_cmpx_ne_u32_e32 0, v2
	s_cbranch_execz .LBB6_499
; %bb.498:                              ;   in Loop: Header=BB6_473 Depth=3
	ds_load_b64 v[9:10], v0 offset:584
	s_waitcnt lgkmcnt(0)
	v_add_co_u32 v9, vcc_lo, v9, 1
	v_add_co_ci_u32_e32 v10, vcc_lo, 0, v10, vcc_lo
	ds_store_b64 v0, v[9:10] offset:584
.LBB6_499:                              ;   in Loop: Header=BB6_473 Depth=3
	s_or_b32 exec_lo, exec_lo, s13
	v_add_co_u32 v34, vcc_lo, v34, 2
	v_add_co_ci_u32_e32 v35, vcc_lo, 0, v35, vcc_lo
.LBB6_500:                              ;   in Loop: Header=BB6_473 Depth=3
	s_or_b32 exec_lo, exec_lo, s17
	s_and_saveexec_b32 s13, s3
	s_cbranch_execz .LBB6_522
; %bb.501:                              ;   in Loop: Header=BB6_473 Depth=3
	s_and_saveexec_b32 s17, s4
	s_delay_alu instid0(SALU_CYCLE_1)
	s_xor_b32 s17, exec_lo, s17
	s_cbranch_execz .LBB6_519
; %bb.502:                              ;   in Loop: Header=BB6_473 Depth=3
	s_and_saveexec_b32 s18, s1
	s_cbranch_execz .LBB6_518
; %bb.503:                              ;   in Loop: Header=BB6_473 Depth=3
	s_mov_b32 s20, exec_lo
	s_mov_b32 s19, exec_lo
	v_mbcnt_lo_u32_b32 v2, s20, 0
	s_waitcnt lgkmcnt(0)
	s_waitcnt_vscnt null, 0x0
	buffer_gl1_inv
	buffer_gl0_inv
	v_cmpx_eq_u32_e32 0, v2
	s_cbranch_execz .LBB6_505
; %bb.504:                              ;   in Loop: Header=BB6_473 Depth=3
	s_bcnt1_i32_b32 s20, s20
	s_delay_alu instid0(SALU_CYCLE_1)
	v_mov_b32_e32 v2, s20
	ds_add_u64 v0, v[2:3]
	s_cbranch_execnz .LBB6_1612
.LBB6_505:                              ;   in Loop: Header=BB6_473 Depth=3
	s_or_b32 exec_lo, exec_lo, s19
	s_cbranch_execnz .LBB6_1578
; %bb.506:                              ;   in Loop: Header=BB6_473 Depth=3
	ds_load_b64 v[9:10], v0
	v_add_co_u32 v48, vcc_lo, v48, v97
	v_add_co_ci_u32_e32 v49, vcc_lo, 0, v49, vcc_lo
	s_mov_b32 s19, exec_lo
	s_waitcnt lgkmcnt(0)
	s_delay_alu instid0(VALU_DEP_1)
	v_cmpx_lt_u64_e64 v[9:10], v[48:49]
	s_cbranch_execz .LBB6_517
; %bb.507:                              ;   in Loop: Header=BB6_473 Depth=3
	s_mov_b32 s20, 0
	s_mov_b32 s26, 0
                                        ; implicit-def: $sgpr22
                                        ; implicit-def: $sgpr25
	s_branch .LBB6_509
.LBB6_508:                              ;   in Loop: Header=BB6_509 Depth=4
	s_or_b32 exec_lo, exec_lo, vcc_hi
	s_delay_alu instid0(SALU_CYCLE_1) | instskip(NEXT) | instid1(SALU_CYCLE_1)
	s_and_b32 s27, exec_lo, vcc_lo
	s_or_b32 s20, s27, s20
	s_and_not1_b32 s22, s22, exec_lo
	s_and_b32 s27, s25, exec_lo
	s_delay_alu instid0(SALU_CYCLE_1)
	s_or_b32 s22, s22, s27
	s_and_not1_b32 exec_lo, exec_lo, s20
	s_cbranch_execz .LBB6_515
.LBB6_509:                              ;   Parent Loop BB6_51 Depth=1
                                        ;     Parent Loop BB6_303 Depth=2
                                        ;       Parent Loop BB6_473 Depth=3
                                        ; =>      This Inner Loop Header: Depth=4
	s_add_i32 s26, s26, 1
                                        ; implicit-def: $vcc_hi
	s_delay_alu instid0(SALU_CYCLE_1) | instskip(SKIP_1) | instid1(SALU_CYCLE_1)
	s_cmpk_lg_i32 s26, 0x2710
	s_cselect_b32 s27, -1, 0
	s_and_b32 vcc_lo, exec_lo, s27
	s_cbranch_vccz .LBB6_513
.LBB6_510:                              ;   in Loop: Header=BB6_509 Depth=4
	s_and_not1_b32 s25, s25, exec_lo
	s_and_b32 vcc_hi, vcc_hi, exec_lo
	s_mov_b32 vcc_lo, -1
	s_or_b32 s25, s25, vcc_hi
	s_and_saveexec_b32 vcc_hi, s27
	s_cbranch_execz .LBB6_508
; %bb.511:                              ;   in Loop: Header=BB6_509 Depth=4
	s_sleep 1
	s_cbranch_execnz .LBB6_1660
; %bb.512:                              ;   in Loop: Header=BB6_509 Depth=4
	ds_load_b64 v[9:10], v0
	s_and_not1_b32 s25, s25, exec_lo
	s_waitcnt lgkmcnt(0)
	v_cmp_ge_u64_e32 vcc_lo, v[9:10], v[48:49]
	s_or_not1_b32 vcc_lo, vcc_lo, exec_lo
	s_branch .LBB6_508
.LBB6_513:                              ;   in Loop: Header=BB6_509 Depth=4
	s_cbranch_execnz .LBB6_1670
; %bb.514:                              ;   in Loop: Header=BB6_509 Depth=4
	ds_load_b64 v[9:10], v0
	s_and_not1_b32 s27, s27, exec_lo
	s_mov_b32 s26, 0
	s_waitcnt lgkmcnt(0)
	flat_load_b32 v2, v[9:10] glc
	s_waitcnt vmcnt(0) lgkmcnt(0)
	buffer_gl1_inv
	buffer_gl0_inv
	v_cmp_eq_u32_e32 vcc_lo, 0, v2
	s_mov_b32 vcc_hi, -1
	s_and_b32 vcc_lo, vcc_lo, exec_lo
	s_delay_alu instid0(SALU_CYCLE_1)
	s_or_b32 s27, s27, vcc_lo
	s_branch .LBB6_510
.LBB6_515:                              ;   in Loop: Header=BB6_473 Depth=3
	s_or_b32 exec_lo, exec_lo, s20
	s_and_saveexec_b32 s20, s22
	s_delay_alu instid0(SALU_CYCLE_1)
	s_xor_b32 s20, exec_lo, s20
	s_cbranch_execz .LBB6_517
; %bb.516:                              ;   in Loop: Header=BB6_473 Depth=3
	ds_store_b32 v0, v144
	s_cbranch_execnz .LBB6_1870
.LBB6_517:                              ;   in Loop: Header=BB6_473 Depth=3
	s_or_b32 exec_lo, exec_lo, s19
	;;#ASMSTART
	s_wakeup
	;;#ASMEND
.LBB6_518:                              ;   in Loop: Header=BB6_473 Depth=3
	s_or_b32 exec_lo, exec_lo, s18
.LBB6_519:                              ;   in Loop: Header=BB6_473 Depth=3
	s_and_not1_saveexec_b32 s17, s17
	s_cbranch_execz .LBB6_521
; %bb.520:                              ;   in Loop: Header=BB6_473 Depth=3
	s_waitcnt lgkmcnt(0)
	s_waitcnt_vscnt null, 0x0
	buffer_gl1_inv
	buffer_gl0_inv
	s_barrier
.LBB6_521:                              ;   in Loop: Header=BB6_473 Depth=3
	s_or_b32 exec_lo, exec_lo, s17
.LBB6_522:                              ;   in Loop: Header=BB6_473 Depth=3
	s_delay_alu instid0(SALU_CYCLE_1) | instskip(SKIP_2) | instid1(SALU_CYCLE_1)
	s_or_b32 exec_lo, exec_lo, s13
	s_mov_b32 s17, s31
                                        ; implicit-def: $vgpr2
	s_and_saveexec_b32 s13, s31
	s_xor_b32 s13, exec_lo, s13
	s_cbranch_execz .LBB6_544
; %bb.523:                              ;   in Loop: Header=BB6_473 Depth=3
	s_and_saveexec_b32 s18, s4
	s_delay_alu instid0(SALU_CYCLE_1)
	s_xor_b32 s18, exec_lo, s18
	s_cbranch_execz .LBB6_541
; %bb.524:                              ;   in Loop: Header=BB6_473 Depth=3
	s_and_saveexec_b32 s19, s1
	s_cbranch_execz .LBB6_540
; %bb.525:                              ;   in Loop: Header=BB6_473 Depth=3
	s_mov_b32 s22, exec_lo
	s_mov_b32 s20, exec_lo
	v_mbcnt_lo_u32_b32 v2, s22, 0
	;;#ASMSTART
	s_waitcnt lgkmcnt(0) vmcnt(0)
	;;#ASMEND
	s_delay_alu instid0(VALU_DEP_1)
	v_cmpx_eq_u32_e32 0, v2
	s_cbranch_execz .LBB6_527
; %bb.526:                              ;   in Loop: Header=BB6_473 Depth=3
	s_bcnt1_i32_b32 s22, s22
	s_delay_alu instid0(SALU_CYCLE_1)
	v_mov_b32_e32 v2, s22
	ds_add_u64 v0, v[2:3]
	s_cbranch_execnz .LBB6_1620
.LBB6_527:                              ;   in Loop: Header=BB6_473 Depth=3
	s_or_b32 exec_lo, exec_lo, s20
	s_cbranch_execnz .LBB6_1588
; %bb.528:                              ;   in Loop: Header=BB6_473 Depth=3
	ds_load_b64 v[9:10], v0
	v_add_co_u32 v48, vcc_lo, v48, v97
	v_add_co_ci_u32_e32 v49, vcc_lo, 0, v49, vcc_lo
	s_mov_b32 s20, exec_lo
	s_waitcnt lgkmcnt(0)
	s_delay_alu instid0(VALU_DEP_1)
	v_cmpx_lt_u64_e64 v[9:10], v[48:49]
	s_cbranch_execz .LBB6_539
; %bb.529:                              ;   in Loop: Header=BB6_473 Depth=3
	s_mov_b32 s22, 0
	s_mov_b32 s27, 0
                                        ; implicit-def: $sgpr25
                                        ; implicit-def: $sgpr26
	s_branch .LBB6_531
.LBB6_530:                              ;   in Loop: Header=BB6_531 Depth=4
	s_or_b32 exec_lo, exec_lo, s31
	s_delay_alu instid0(SALU_CYCLE_1) | instskip(NEXT) | instid1(SALU_CYCLE_1)
	s_and_b32 vcc_lo, exec_lo, vcc_lo
	s_or_b32 s22, vcc_lo, s22
	s_and_not1_b32 s25, s25, exec_lo
	s_and_b32 vcc_lo, s26, exec_lo
	s_delay_alu instid0(SALU_CYCLE_1)
	s_or_b32 s25, s25, vcc_lo
	s_and_not1_b32 exec_lo, exec_lo, s22
	s_cbranch_execz .LBB6_537
.LBB6_531:                              ;   Parent Loop BB6_51 Depth=1
                                        ;     Parent Loop BB6_303 Depth=2
                                        ;       Parent Loop BB6_473 Depth=3
                                        ; =>      This Inner Loop Header: Depth=4
	s_add_i32 s27, s27, 1
                                        ; implicit-def: $sgpr31
	s_delay_alu instid0(SALU_CYCLE_1) | instskip(SKIP_1) | instid1(SALU_CYCLE_1)
	s_cmpk_lg_i32 s27, 0x2710
	s_cselect_b32 vcc_hi, -1, 0
	s_and_b32 vcc_lo, exec_lo, vcc_hi
	s_cbranch_vccz .LBB6_535
.LBB6_532:                              ;   in Loop: Header=BB6_531 Depth=4
	s_and_not1_b32 s26, s26, exec_lo
	s_and_b32 s31, s31, exec_lo
	s_mov_b32 vcc_lo, -1
	s_or_b32 s26, s26, s31
	s_and_saveexec_b32 s31, vcc_hi
	s_cbranch_execz .LBB6_530
; %bb.533:                              ;   in Loop: Header=BB6_531 Depth=4
	s_sleep 1
	s_cbranch_execnz .LBB6_1664
; %bb.534:                              ;   in Loop: Header=BB6_531 Depth=4
	ds_load_b64 v[9:10], v0
	s_and_not1_b32 s26, s26, exec_lo
	s_waitcnt lgkmcnt(0)
	v_cmp_ge_u64_e32 vcc_lo, v[9:10], v[48:49]
	s_or_not1_b32 vcc_lo, vcc_lo, exec_lo
	s_branch .LBB6_530
.LBB6_535:                              ;   in Loop: Header=BB6_531 Depth=4
	s_cbranch_execnz .LBB6_1682
; %bb.536:                              ;   in Loop: Header=BB6_531 Depth=4
	ds_load_b64 v[9:10], v0
	s_mov_b32 s27, 0
	s_mov_b32 s31, -1
	s_waitcnt lgkmcnt(0)
	s_waitcnt_vscnt null, 0x0
	flat_load_b32 v2, v[9:10] glc
	s_waitcnt vmcnt(0) lgkmcnt(0)
	buffer_gl1_inv
	buffer_gl0_inv
	v_cmp_eq_u32_e32 vcc_lo, 0, v2
	s_and_not1_b32 vcc_hi, vcc_hi, exec_lo
	s_and_b32 vcc_lo, vcc_lo, exec_lo
	s_delay_alu instid0(SALU_CYCLE_1)
	s_or_b32 vcc_hi, vcc_hi, vcc_lo
	s_branch .LBB6_532
.LBB6_537:                              ;   in Loop: Header=BB6_473 Depth=3
	s_or_b32 exec_lo, exec_lo, s22
	s_and_saveexec_b32 s22, s25
	s_delay_alu instid0(SALU_CYCLE_1)
	s_xor_b32 s22, exec_lo, s22
	s_cbranch_execz .LBB6_539
; %bb.538:                              ;   in Loop: Header=BB6_473 Depth=3
	ds_store_b32 v0, v144
	s_cbranch_execnz .LBB6_1874
.LBB6_539:                              ;   in Loop: Header=BB6_473 Depth=3
	s_or_b32 exec_lo, exec_lo, s20
	;;#ASMSTART
	s_wakeup
	;;#ASMEND
.LBB6_540:                              ;   in Loop: Header=BB6_473 Depth=3
	s_or_b32 exec_lo, exec_lo, s19
.LBB6_541:                              ;   in Loop: Header=BB6_473 Depth=3
	s_and_not1_saveexec_b32 s18, s18
	s_cbranch_execz .LBB6_543
; %bb.542:                              ;   in Loop: Header=BB6_473 Depth=3
	;;#ASMSTART
	s_waitcnt lgkmcnt(0) vmcnt(0)
	;;#ASMEND
	s_waitcnt lgkmcnt(0)
	s_waitcnt_vscnt null, 0x0
	s_barrier
.LBB6_543:                              ;   in Loop: Header=BB6_473 Depth=3
	s_or_b32 exec_lo, exec_lo, s18
	v_and_b32_e32 v2, 16, v30
.LBB6_544:                              ;   in Loop: Header=BB6_473 Depth=3
	s_and_not1_saveexec_b32 s18, s13
	s_cbranch_execz .LBB6_549
; %bb.545:                              ;   in Loop: Header=BB6_473 Depth=3
	s_cbranch_execnz .LBB6_1524
; %bb.546:                              ;   in Loop: Header=BB6_473 Depth=3
	ds_load_b32 v2, v0
	v_cmp_lt_i32_e32 vcc_lo, 0, v8
	s_waitcnt lgkmcnt(0)
	v_readfirstlane_b32 s13, v2
	v_and_b32_e32 v2, 16, v30
	s_delay_alu instid0(VALU_DEP_2) | instskip(NEXT) | instid1(VALU_DEP_1)
	s_cmp_eq_u32 s13, 0
	v_cmp_ne_u32_e64 s13, 0, v2
	s_cselect_b32 s19, -1, 0
	v_and_b32_e32 v2, 16, v30
	s_and_b32 s19, vcc_lo, s19
	s_delay_alu instid0(VALU_DEP_2) | instid1(SALU_CYCLE_1)
	s_and_b32 s19, s13, s19
	s_delay_alu instid0(SALU_CYCLE_1)
	s_and_saveexec_b32 s13, s19
	s_cbranch_execz .LBB6_548
; %bb.547:                              ;   in Loop: Header=BB6_473 Depth=3
	v_mov_b32_e32 v2, 1
	s_waitcnt_vscnt null, 0x0
	buffer_gl1_inv
	buffer_gl0_inv
.LBB6_548:                              ;   in Loop: Header=BB6_473 Depth=3
	s_or_b32 exec_lo, exec_lo, s13
.LBB6_549:                              ;   in Loop: Header=BB6_473 Depth=3
	s_delay_alu instid0(SALU_CYCLE_1) | instskip(NEXT) | instid1(VALU_DEP_1)
	s_or_b32 exec_lo, exec_lo, s18
	v_cmp_ne_u32_e32 vcc_lo, 0, v2
	s_xor_b32 s13, s10, -1
	s_delay_alu instid0(SALU_CYCLE_1) | instskip(NEXT) | instid1(SALU_CYCLE_1)
	s_and_b32 s18, vcc_lo, s13
	s_and_saveexec_b32 s13, s18
	s_cbranch_execz .LBB6_551
; %bb.550:                              ;   in Loop: Header=BB6_473 Depth=3
	s_waitcnt lgkmcnt(0)
	s_waitcnt_vscnt null, 0x0
	flat_store_b32 v[38:39], v144
.LBB6_551:                              ;   in Loop: Header=BB6_473 Depth=3
	s_or_b32 exec_lo, exec_lo, s13
	v_and_b32_e32 v2, 48, v30
	s_mov_b32 s13, exec_lo
	s_delay_alu instid0(VALU_DEP_1)
	v_cmpx_ne_u32_e32 0, v2
	s_cbranch_execz .LBB6_553
; %bb.552:                              ;   in Loop: Header=BB6_473 Depth=3
	v_add_co_u32 v34, vcc_lo, v34, 2
	v_add_co_ci_u32_e32 v35, vcc_lo, 0, v35, vcc_lo
	s_waitcnt lgkmcnt(0)
	s_waitcnt_vscnt null, 0x0
	flat_store_b64 v[32:33], v[34:35]
.LBB6_553:                              ;   in Loop: Header=BB6_473 Depth=3
	s_or_b32 exec_lo, exec_lo, s13
	v_add_nc_u32_e32 v19, v8, v19
	s_mov_b32 s13, 0
	s_mov_b32 s31, s17
	s_and_not1_b32 exec_lo, exec_lo, s16
	s_cbranch_execnz .LBB6_473
; %bb.554:                              ;   in Loop: Header=BB6_303 Depth=2
	s_or_b32 exec_lo, exec_lo, s16
.LBB6_555:                              ;   in Loop: Header=BB6_303 Depth=2
	s_delay_alu instid0(SALU_CYCLE_1) | instskip(SKIP_1) | instid1(SALU_CYCLE_1)
	s_or_b32 exec_lo, exec_lo, s14
	s_add_i32 s15, s15, 1
	s_cmp_eq_u32 s15, s23
	s_cbranch_scc0 .LBB6_303
.LBB6_556:                              ;   in Loop: Header=BB6_51 Depth=1
	v_mul_lo_u32 v2, v65, s23
	v_mul_lo_u32 v10, v64, s21
	v_mad_u64_u32 v[8:9], null, v64, s23, 0
	v_mov_b32_e32 v148, 0
	s_mov_b32 s16, 0
	s_delay_alu instid0(VALU_DEP_2) | instskip(NEXT) | instid1(VALU_DEP_3)
	v_add3_u32 v9, v9, v10, v2
	v_sub_co_u32 v10, vcc_lo, v66, v8
	s_delay_alu instid0(VALU_DEP_2) | instskip(NEXT) | instid1(VALU_DEP_1)
	v_sub_co_ci_u32_e32 v11, vcc_lo, v67, v9, vcc_lo
	v_cmp_lt_i64_e32 vcc_lo, v[64:65], v[10:11]
	v_cndmask_b32_e32 v10, v10, v64, vcc_lo
	s_delay_alu instid0(VALU_DEP_1) | instskip(NEXT) | instid1(VALU_DEP_1)
	v_max_i32_e32 v147, 0, v10
	v_add_nc_u32_e32 v2, 31, v147
	s_delay_alu instid0(VALU_DEP_1) | instskip(NEXT) | instid1(VALU_DEP_1)
	v_lshrrev_b32_e32 v2, 1, v2
	v_and_b32_e32 v11, 0x3ffffff0, v2
	v_cmp_lt_i32_e32 vcc_lo, 0, v10
	v_mov_b32_e32 v2, 0
	s_delay_alu instid0(VALU_DEP_3) | instskip(SKIP_1) | instid1(SALU_CYCLE_1)
	v_max_i32_e32 v68, s29, v11
	s_and_b32 s14, s37, vcc_lo
	s_and_saveexec_b32 s13, s14
	s_cbranch_execz .LBB6_773
; %bb.557:                              ;   in Loop: Header=BB6_51 Depth=1
	v_add_co_u32 v149, vcc_lo, v8, v145
	v_add_co_ci_u32_e32 v150, vcc_lo, v9, v146, vcc_lo
	v_mov_b32_e32 v148, 0
	s_mov_b32 s17, 1
	s_mov_b32 s15, -1
                                        ; implicit-def: $vgpr173 : SGPR spill to VGPR lane
	v_writelane_b32 v173, s13, 0
.LBB6_558:                              ;   Parent Loop BB6_51 Depth=1
                                        ; =>  This Loop Header: Depth=2
                                        ;       Child Loop BB6_567 Depth 3
                                        ;       Child Loop BB6_599 Depth 3
                                        ;       Child Loop BB6_622 Depth 3
                                        ;       Child Loop BB6_651 Depth 3
                                        ;       Child Loop BB6_657 Depth 3
                                        ;         Child Loop BB6_658 Depth 4
                                        ;       Child Loop BB6_670 Depth 3
                                        ;       Child Loop BB6_676 Depth 3
                                        ;         Child Loop BB6_677 Depth 4
                                        ;       Child Loop BB6_693 Depth 3
                                        ;       Child Loop BB6_699 Depth 3
	;; [unrolled: 1-line block ×6, first 2 shown]
	s_and_saveexec_b32 s14, s0
	s_cbranch_execz .LBB6_561
; %bb.559:                              ;   in Loop: Header=BB6_558 Depth=2
	s_cbranch_execnz .LBB6_1492
; %bb.560:                              ;   in Loop: Header=BB6_558 Depth=2
	ds_load_2addr_b64 v[8:11], v0 offset1:1
	ds_load_b64 v[12:13], v0
	v_ashrrev_i32_e32 v2, 31, v148
	s_waitcnt lgkmcnt(1)
	v_add_co_u32 v8, vcc_lo, v8, v149
	v_add_co_ci_u32_e32 v9, vcc_lo, v9, v150, vcc_lo
	v_add_co_u32 v10, vcc_lo, v10, v149
	v_add_co_ci_u32_e32 v11, vcc_lo, v11, v150, vcc_lo
	s_waitcnt lgkmcnt(0)
	v_add_co_u32 v14, vcc_lo, v12, v149
	v_add_co_ci_u32_e32 v15, vcc_lo, v13, v150, vcc_lo
	v_add_co_u32 v8, vcc_lo, v8, v148
	v_add_co_ci_u32_e32 v9, vcc_lo, v9, v2, vcc_lo
	s_delay_alu instid0(VALU_DEP_4) | instskip(NEXT) | instid1(VALU_DEP_4)
	v_add_co_u32 v14, vcc_lo, v14, v148
	v_add_co_ci_u32_e32 v15, vcc_lo, v15, v2, vcc_lo
	v_cmp_ne_u64_e32 vcc_lo, 0, v[12:13]
	v_add_co_u32 v10, s13, v10, v148
	s_delay_alu instid0(VALU_DEP_1) | instskip(NEXT) | instid1(VALU_DEP_4)
	v_add_co_ci_u32_e64 v11, s13, v11, v2, s13
	v_dual_cndmask_b32 v13, 0, v15 :: v_dual_cndmask_b32 v12, 0, v14
	ds_store_b64 v0, v[8:9]
	ds_store_b64 v0, v[10:11]
	;; [unrolled: 1-line block ×3, first 2 shown]
.LBB6_561:                              ;   in Loop: Header=BB6_558 Depth=2
	s_or_b32 exec_lo, exec_lo, s14
	v_and_b32_e32 v2, 12, v30
	s_mov_b32 s18, -1
	s_mov_b32 s13, exec_lo
	s_delay_alu instid0(VALU_DEP_1)
	v_cmpx_ne_u32_e32 0, v2
	s_cbranch_execz .LBB6_575
; %bb.562:                              ;   in Loop: Header=BB6_558 Depth=2
	v_and_b32_e32 v2, 8, v30
	s_mov_b32 s14, s17
	s_delay_alu instid0(VALU_DEP_1) | instskip(SKIP_3) | instid1(VALU_DEP_1)
	v_add_co_u32 v10, vcc_lo, v50, v2
	v_add_co_ci_u32_e32 v11, vcc_lo, 0, v51, vcc_lo
	v_add_co_u32 v8, vcc_lo, v34, 2
	v_add_co_ci_u32_e32 v9, vcc_lo, 0, v35, vcc_lo
	v_cmp_lt_u64_e32 vcc_lo, v[10:11], v[8:9]
	v_mov_b32_e32 v10, 1
	s_and_saveexec_b32 s17, vcc_lo
	s_cbranch_execz .LBB6_574
; %bb.563:                              ;   in Loop: Header=BB6_558 Depth=2
	v_mov_b32_e32 v10, 0
	s_mov_b32 s18, 0
                                        ; implicit-def: $sgpr19
	s_branch .LBB6_567
.LBB6_564:                              ;   in Loop: Header=BB6_567 Depth=3
	s_or_b32 exec_lo, exec_lo, s26
	v_mov_b32_e32 v11, 0
	s_or_not1_b32 s25, s25, exec_lo
.LBB6_565:                              ;   in Loop: Header=BB6_567 Depth=3
	s_or_b32 exec_lo, exec_lo, s22
	s_delay_alu instid0(VALU_DEP_1) | instskip(SKIP_2) | instid1(SALU_CYCLE_1)
	v_mov_b32_e32 v10, v11
	s_and_not1_b32 s19, s19, exec_lo
	s_and_b32 s22, s25, exec_lo
	s_or_b32 s19, s19, s22
.LBB6_566:                              ;   in Loop: Header=BB6_567 Depth=3
	s_or_b32 exec_lo, exec_lo, s20
	s_waitcnt vmcnt(0) lgkmcnt(0)
	v_add_co_u32 v11, vcc_lo, v50, v2
	v_add_co_ci_u32_e32 v12, vcc_lo, 0, v51, vcc_lo
	s_xor_b32 s20, s19, -1
	s_delay_alu instid0(VALU_DEP_1) | instskip(SKIP_1) | instid1(SALU_CYCLE_1)
	v_cmp_ge_u64_e32 vcc_lo, v[11:12], v[8:9]
	s_or_b32 s20, s20, vcc_lo
	s_and_b32 s20, exec_lo, s20
	s_delay_alu instid0(SALU_CYCLE_1) | instskip(NEXT) | instid1(SALU_CYCLE_1)
	s_or_b32 s18, s20, s18
	s_and_not1_b32 exec_lo, exec_lo, s18
	s_cbranch_execz .LBB6_573
.LBB6_567:                              ;   Parent Loop BB6_51 Depth=1
                                        ;     Parent Loop BB6_558 Depth=2
                                        ; =>    This Inner Loop Header: Depth=3
	s_sleep 1
	flat_load_b64 v[50:51], v[32:33] glc
	v_and_b32_e32 v11, 64, v30
	s_and_not1_b32 s19, s19, exec_lo
	s_mov_b32 s20, exec_lo
	s_delay_alu instid0(VALU_DEP_1)
	v_cmpx_eq_u32_e32 0, v11
	s_cbranch_execz .LBB6_566
; %bb.568:                              ;   in Loop: Header=BB6_567 Depth=3
	v_add_nc_u32_e32 v11, 1, v10
	s_mov_b32 s25, -1
	s_mov_b32 s22, exec_lo
	v_cmpx_lt_i32_e32 0x270e, v10
	s_cbranch_execz .LBB6_565
; %bb.569:                              ;   in Loop: Header=BB6_567 Depth=3
	s_cbranch_execnz .LBB6_1518
; %bb.570:                              ;   in Loop: Header=BB6_567 Depth=3
	ds_load_b64 v[10:11], v0
	s_mov_b32 s26, exec_lo
	s_waitcnt vmcnt(0) lgkmcnt(0)
	s_waitcnt_vscnt null, 0x0
	flat_load_b32 v10, v[10:11] glc
	s_waitcnt vmcnt(0) lgkmcnt(0)
	buffer_gl1_inv
	buffer_gl0_inv
	v_cmpx_ne_u32_e32 0, v10
	s_cbranch_execz .LBB6_564
; %bb.571:                              ;   in Loop: Header=BB6_567 Depth=3
	ds_store_b32 v0, v10
	s_cbranch_execnz .LBB6_1572
; %bb.572:                              ;   in Loop: Header=BB6_567 Depth=3
	v_or_b32_e32 v30, 64, v30
	s_xor_b32 s25, exec_lo, -1
	s_branch .LBB6_564
.LBB6_573:                              ;   in Loop: Header=BB6_558 Depth=2
	s_or_b32 exec_lo, exec_lo, s18
	v_and_b32_e32 v10, 12, v30
.LBB6_574:                              ;   in Loop: Header=BB6_558 Depth=2
	s_or_b32 exec_lo, exec_lo, s17
	s_delay_alu instid0(VALU_DEP_1)
	v_cmp_eq_u32_e32 vcc_lo, 0, v10
	s_mov_b32 s17, s14
	;;#ASMSTART
	s_wakeup
	;;#ASMEND
	s_or_not1_b32 s18, vcc_lo, exec_lo
.LBB6_575:                              ;   in Loop: Header=BB6_558 Depth=2
	s_or_b32 exec_lo, exec_lo, s13
	v_sub_nc_u32_e32 v2, v147, v148
	s_xor_b32 s13, s18, -1
	s_delay_alu instid0(VALU_DEP_1)
	v_min_i32_e32 v68, v68, v2
	s_and_saveexec_b32 s14, s13
	s_cbranch_execz .LBB6_590
; %bb.576:                              ;   in Loop: Header=BB6_558 Depth=2
	v_and_b32_e32 v2, 0x108, v30
	s_mov_b32 s13, exec_lo
	s_delay_alu instid0(VALU_DEP_1)
	v_cmpx_ne_u32_e32 0x108, v2
	s_xor_b32 s13, exec_lo, s13
                                        ; implicit-def: $vgpr8_vgpr9
; %bb.577:                              ;   in Loop: Header=BB6_558 Depth=2
	v_and_b32_e32 v8, 7, v34
; %bb.578:                              ;   in Loop: Header=BB6_558 Depth=2
	s_and_not1_saveexec_b32 s13, s13
	s_cbranch_execz .LBB6_580
; %bb.579:                              ;   in Loop: Header=BB6_558 Depth=2
	v_and_b32_e32 v8, 7, v34
	v_ashrrev_i32_e32 v69, 31, v68
	s_delay_alu instid0(VALU_DEP_2)
	v_mad_u64_u32 v[9:10], null, v8, 24, v[6:7]
	flat_store_b64 v[9:10], v[68:69] offset:8
.LBB6_580:                              ;   in Loop: Header=BB6_558 Depth=2
	s_or_b32 exec_lo, exec_lo, s13
	v_and_b32_e32 v2, 0x100, v30
	s_mov_b32 s13, -1
	s_mov_b32 s18, exec_lo
                                        ; implicit-def: $vgpr9_vgpr10
	s_delay_alu instid0(VALU_DEP_1)
	v_cmpx_ne_u32_e32 0, v2
	s_cbranch_execnz .LBB6_583
; %bb.581:                              ;   in Loop: Header=BB6_558 Depth=2
	s_or_b32 exec_lo, exec_lo, s18
	s_and_saveexec_b32 s18, s13
	s_cbranch_execnz .LBB6_586
.LBB6_582:                              ;   in Loop: Header=BB6_558 Depth=2
	s_or_b32 exec_lo, exec_lo, s18
	s_cbranch_execnz .LBB6_1512
	s_branch .LBB6_587
.LBB6_583:                              ;   in Loop: Header=BB6_558 Depth=2
	v_mad_u64_u32 v[11:12], null, v8, 24, v[6:7]
	s_mov_b32 s19, exec_lo
	s_delay_alu instid0(VALU_DEP_1) | instskip(NEXT) | instid1(VALU_DEP_1)
	v_mov_b32_e32 v2, v12
	v_mad_u64_u32 v[9:10], null, v3, 24, v[2:3]
	s_delay_alu instid0(VALU_DEP_1)
	v_mov_b32_e32 v12, v9
                                        ; implicit-def: $vgpr9_vgpr10
	flat_load_b32 v2, v[11:12]
	s_waitcnt vmcnt(0) lgkmcnt(0)
	v_cmp_ne_u32_e32 vcc_lo, 1, v2
	v_cmpx_eq_u32_e32 1, v2
	s_cbranch_execz .LBB6_585
; %bb.584:                              ;   in Loop: Header=BB6_558 Depth=2
	flat_load_b32 v9, v[11:12] offset:4 glc
	s_waitcnt vmcnt(0) lgkmcnt(0)
	v_ashrrev_i32_e32 v10, 31, v9
.LBB6_585:                              ;   in Loop: Header=BB6_558 Depth=2
	s_or_b32 exec_lo, exec_lo, s19
	s_delay_alu instid0(SALU_CYCLE_1)
	s_or_not1_b32 s13, vcc_lo, exec_lo
	s_or_b32 exec_lo, exec_lo, s18
	s_and_saveexec_b32 s18, s13
	s_cbranch_execz .LBB6_582
.LBB6_586:                              ;   in Loop: Header=BB6_558 Depth=2
	v_mul_lo_u32 v2, v3, v86
	v_mul_lo_u32 v11, v8, v96
	v_mad_u64_u32 v[9:10], null, v8, v86, 0
	s_delay_alu instid0(VALU_DEP_1)
	v_add3_u32 v10, v10, v11, v2
	s_or_b32 exec_lo, exec_lo, s18
	s_cbranch_execnz .LBB6_1512
.LBB6_587:                              ;   in Loop: Header=BB6_558 Depth=2
	s_delay_alu instid0(VALU_DEP_2)
	v_add_co_u32 v8, vcc_lo, v36, v9
	v_and_b32_e32 v2, 0x2000, v30
	v_add_co_ci_u32_e32 v9, vcc_lo, v37, v10, vcc_lo
	s_mov_b32 s13, exec_lo
	ds_store_b64 v0, v[8:9]
	v_cmpx_ne_u32_e32 0, v2
	s_cbranch_execz .LBB6_589
; %bb.588:                              ;   in Loop: Header=BB6_558 Depth=2
	ds_load_b64 v[8:9], v0 offset:584
	s_waitcnt lgkmcnt(0)
	v_add_co_u32 v8, vcc_lo, v8, 1
	v_add_co_ci_u32_e32 v9, vcc_lo, 0, v9, vcc_lo
	ds_store_b64 v0, v[8:9] offset:584
.LBB6_589:                              ;   in Loop: Header=BB6_558 Depth=2
	s_or_b32 exec_lo, exec_lo, s13
	v_add_co_u32 v34, vcc_lo, v34, 2
	v_add_co_ci_u32_e32 v35, vcc_lo, 0, v35, vcc_lo
.LBB6_590:                              ;   in Loop: Header=BB6_558 Depth=2
	v_writelane_b32 v173, s15, 1
	v_writelane_b32 v173, s17, 2
	;; [unrolled: 1-line block ×21, first 2 shown]
	s_or_b32 exec_lo, exec_lo, s14
	s_and_saveexec_b32 s13, s3
	s_cbranch_execz .LBB6_612
; %bb.591:                              ;   in Loop: Header=BB6_558 Depth=2
	s_and_saveexec_b32 s14, s4
	s_delay_alu instid0(SALU_CYCLE_1)
	s_xor_b32 s14, exec_lo, s14
	s_cbranch_execz .LBB6_609
; %bb.592:                              ;   in Loop: Header=BB6_558 Depth=2
	s_and_saveexec_b32 s15, s1
	s_cbranch_execz .LBB6_608
; %bb.593:                              ;   in Loop: Header=BB6_558 Depth=2
	s_mov_b32 s17, exec_lo
	s_mov_b32 s16, exec_lo
	v_mbcnt_lo_u32_b32 v2, s17, 0
	s_waitcnt lgkmcnt(0)
	s_waitcnt_vscnt null, 0x0
	buffer_gl1_inv
	buffer_gl0_inv
	v_cmpx_eq_u32_e32 0, v2
	s_cbranch_execz .LBB6_595
; %bb.594:                              ;   in Loop: Header=BB6_558 Depth=2
	s_bcnt1_i32_b32 s17, s17
	s_delay_alu instid0(SALU_CYCLE_1)
	v_mov_b32_e32 v2, s17
	ds_add_u64 v0, v[2:3]
	s_cbranch_execnz .LBB6_1626
.LBB6_595:                              ;   in Loop: Header=BB6_558 Depth=2
	s_or_b32 exec_lo, exec_lo, s16
	s_cbranch_execnz .LBB6_1600
; %bb.596:                              ;   in Loop: Header=BB6_558 Depth=2
	ds_load_b64 v[8:9], v0
	v_add_co_u32 v48, vcc_lo, v48, v97
	v_add_co_ci_u32_e32 v49, vcc_lo, 0, v49, vcc_lo
	s_mov_b32 s16, exec_lo
	s_waitcnt lgkmcnt(0)
	s_delay_alu instid0(VALU_DEP_1)
	v_cmpx_lt_u64_e64 v[8:9], v[48:49]
	s_cbranch_execz .LBB6_607
; %bb.597:                              ;   in Loop: Header=BB6_558 Depth=2
	s_mov_b32 s17, 0
	s_mov_b32 s20, 0
                                        ; implicit-def: $sgpr18
                                        ; implicit-def: $sgpr19
	s_branch .LBB6_599
.LBB6_598:                              ;   in Loop: Header=BB6_599 Depth=3
	s_or_b32 exec_lo, exec_lo, s23
	s_delay_alu instid0(SALU_CYCLE_1) | instskip(NEXT) | instid1(SALU_CYCLE_1)
	s_and_b32 s21, exec_lo, s22
	s_or_b32 s17, s21, s17
	s_and_not1_b32 s18, s18, exec_lo
	s_and_b32 s21, s19, exec_lo
	s_delay_alu instid0(SALU_CYCLE_1)
	s_or_b32 s18, s18, s21
	s_and_not1_b32 exec_lo, exec_lo, s17
	s_cbranch_execz .LBB6_605
.LBB6_599:                              ;   Parent Loop BB6_51 Depth=1
                                        ;     Parent Loop BB6_558 Depth=2
                                        ; =>    This Inner Loop Header: Depth=3
	s_add_i32 s20, s20, 1
                                        ; implicit-def: $sgpr22
	s_delay_alu instid0(SALU_CYCLE_1) | instskip(SKIP_1) | instid1(SALU_CYCLE_1)
	s_cmpk_lg_i32 s20, 0x2710
	s_cselect_b32 s21, -1, 0
	s_and_b32 vcc_lo, exec_lo, s21
	s_cbranch_vccz .LBB6_603
.LBB6_600:                              ;   in Loop: Header=BB6_599 Depth=3
	s_and_not1_b32 s19, s19, exec_lo
	s_and_b32 s23, s22, exec_lo
	s_mov_b32 s22, -1
	s_or_b32 s19, s19, s23
	s_and_saveexec_b32 s23, s21
	s_cbranch_execz .LBB6_598
; %bb.601:                              ;   in Loop: Header=BB6_599 Depth=3
	s_sleep 1
	s_cbranch_execnz .LBB6_1674
; %bb.602:                              ;   in Loop: Header=BB6_599 Depth=3
	ds_load_b64 v[8:9], v0
	s_and_not1_b32 s19, s19, exec_lo
	s_waitcnt lgkmcnt(0)
	v_cmp_ge_u64_e32 vcc_lo, v[8:9], v[48:49]
	s_or_not1_b32 s22, vcc_lo, exec_lo
	s_branch .LBB6_598
.LBB6_603:                              ;   in Loop: Header=BB6_599 Depth=3
	s_cbranch_execnz .LBB6_1688
; %bb.604:                              ;   in Loop: Header=BB6_599 Depth=3
	ds_load_b64 v[8:9], v0
	s_and_not1_b32 s21, s21, exec_lo
	s_mov_b32 s20, 0
	s_mov_b32 s22, -1
	s_waitcnt lgkmcnt(0)
	flat_load_b32 v2, v[8:9] glc
	s_waitcnt vmcnt(0) lgkmcnt(0)
	buffer_gl1_inv
	buffer_gl0_inv
	v_cmp_eq_u32_e32 vcc_lo, 0, v2
	s_and_b32 s23, vcc_lo, exec_lo
	s_delay_alu instid0(SALU_CYCLE_1)
	s_or_b32 s21, s21, s23
	s_branch .LBB6_600
.LBB6_605:                              ;   in Loop: Header=BB6_558 Depth=2
	s_or_b32 exec_lo, exec_lo, s17
	s_and_saveexec_b32 s17, s18
	s_delay_alu instid0(SALU_CYCLE_1)
	s_xor_b32 s17, exec_lo, s17
	s_cbranch_execz .LBB6_607
; %bb.606:                              ;   in Loop: Header=BB6_558 Depth=2
	ds_store_b32 v0, v144
	s_cbranch_execnz .LBB6_1880
.LBB6_607:                              ;   in Loop: Header=BB6_558 Depth=2
	s_or_b32 exec_lo, exec_lo, s16
	;;#ASMSTART
	s_wakeup
	;;#ASMEND
.LBB6_608:                              ;   in Loop: Header=BB6_558 Depth=2
	s_or_b32 exec_lo, exec_lo, s15
.LBB6_609:                              ;   in Loop: Header=BB6_558 Depth=2
	s_and_not1_saveexec_b32 s14, s14
	s_cbranch_execz .LBB6_611
; %bb.610:                              ;   in Loop: Header=BB6_558 Depth=2
	s_waitcnt lgkmcnt(0)
	s_waitcnt_vscnt null, 0x0
	buffer_gl1_inv
	buffer_gl0_inv
	s_barrier
.LBB6_611:                              ;   in Loop: Header=BB6_558 Depth=2
	s_or_b32 exec_lo, exec_lo, s14
.LBB6_612:                              ;   in Loop: Header=BB6_558 Depth=2
	s_delay_alu instid0(SALU_CYCLE_1)
	s_or_b32 exec_lo, exec_lo, s13
	s_cbranch_execnz .LBB6_1498
; %bb.613:                              ;   in Loop: Header=BB6_558 Depth=2
	ds_load_b32 v8, v0
	v_and_b32_e32 v2, 0x4000, v30
	s_xor_b32 s13, s2, -1
	s_delay_alu instid0(VALU_DEP_1) | instskip(SKIP_1) | instid1(SALU_CYCLE_1)
	v_cmp_ne_u32_e32 vcc_lo, 0, v2
	s_and_b32 s14, s13, vcc_lo
	s_and_saveexec_b32 s13, s14
	s_cbranch_execz .LBB6_635
; %bb.614:                              ;   in Loop: Header=BB6_558 Depth=2
	s_and_saveexec_b32 s14, s4
	s_delay_alu instid0(SALU_CYCLE_1)
	s_xor_b32 s14, exec_lo, s14
	s_cbranch_execz .LBB6_632
; %bb.615:                              ;   in Loop: Header=BB6_558 Depth=2
	s_and_saveexec_b32 s15, s1
	s_cbranch_execz .LBB6_631
; %bb.616:                              ;   in Loop: Header=BB6_558 Depth=2
	s_mov_b32 s17, exec_lo
	s_mov_b32 s16, exec_lo
	v_mbcnt_lo_u32_b32 v2, s17, 0
	s_waitcnt lgkmcnt(0)
	s_waitcnt_vscnt null, 0x0
	buffer_gl1_inv
	buffer_gl0_inv
	v_cmpx_eq_u32_e32 0, v2
	s_cbranch_execz .LBB6_618
; %bb.617:                              ;   in Loop: Header=BB6_558 Depth=2
	s_bcnt1_i32_b32 s17, s17
	s_delay_alu instid0(SALU_CYCLE_1)
	v_mov_b32_e32 v2, s17
	ds_add_u64 v0, v[2:3]
	s_cbranch_execnz .LBB6_1666
.LBB6_618:                              ;   in Loop: Header=BB6_558 Depth=2
	s_or_b32 exec_lo, exec_lo, s16
	s_cbranch_execnz .LBB6_1636
; %bb.619:                              ;   in Loop: Header=BB6_558 Depth=2
	ds_load_b64 v[9:10], v0
	v_add_co_u32 v48, vcc_lo, v48, v97
	v_add_co_ci_u32_e32 v49, vcc_lo, 0, v49, vcc_lo
	s_mov_b32 s16, exec_lo
	s_waitcnt lgkmcnt(0)
	s_delay_alu instid0(VALU_DEP_1)
	v_cmpx_lt_u64_e64 v[9:10], v[48:49]
	s_cbranch_execz .LBB6_630
; %bb.620:                              ;   in Loop: Header=BB6_558 Depth=2
	s_mov_b32 s17, 0
	s_mov_b32 s20, 0
                                        ; implicit-def: $sgpr18
                                        ; implicit-def: $sgpr19
	s_branch .LBB6_622
.LBB6_621:                              ;   in Loop: Header=BB6_622 Depth=3
	s_or_b32 exec_lo, exec_lo, s23
	s_delay_alu instid0(SALU_CYCLE_1) | instskip(NEXT) | instid1(SALU_CYCLE_1)
	s_and_b32 s21, exec_lo, s22
	s_or_b32 s17, s21, s17
	s_and_not1_b32 s18, s18, exec_lo
	s_and_b32 s21, s19, exec_lo
	s_delay_alu instid0(SALU_CYCLE_1)
	s_or_b32 s18, s18, s21
	s_and_not1_b32 exec_lo, exec_lo, s17
	s_cbranch_execz .LBB6_628
.LBB6_622:                              ;   Parent Loop BB6_51 Depth=1
                                        ;     Parent Loop BB6_558 Depth=2
                                        ; =>    This Inner Loop Header: Depth=3
	s_add_i32 s20, s20, 1
                                        ; implicit-def: $sgpr22
	s_delay_alu instid0(SALU_CYCLE_1) | instskip(SKIP_1) | instid1(SALU_CYCLE_1)
	s_cmpk_lg_i32 s20, 0x2710
	s_cselect_b32 s21, -1, 0
	s_and_b32 vcc_lo, exec_lo, s21
	s_cbranch_vccz .LBB6_626
.LBB6_623:                              ;   in Loop: Header=BB6_622 Depth=3
	s_and_not1_b32 s19, s19, exec_lo
	s_and_b32 s23, s22, exec_lo
	s_mov_b32 s22, -1
	s_or_b32 s19, s19, s23
	s_and_saveexec_b32 s23, s21
	s_cbranch_execz .LBB6_621
; %bb.624:                              ;   in Loop: Header=BB6_622 Depth=3
	s_sleep 1
	s_cbranch_execnz .LBB6_1726
; %bb.625:                              ;   in Loop: Header=BB6_622 Depth=3
	ds_load_b64 v[9:10], v0
	s_and_not1_b32 s19, s19, exec_lo
	s_waitcnt lgkmcnt(0)
	v_cmp_ge_u64_e32 vcc_lo, v[9:10], v[48:49]
	s_or_not1_b32 s22, vcc_lo, exec_lo
	s_branch .LBB6_621
.LBB6_626:                              ;   in Loop: Header=BB6_622 Depth=3
	s_cbranch_execnz .LBB6_1742
; %bb.627:                              ;   in Loop: Header=BB6_622 Depth=3
	ds_load_b64 v[9:10], v0
	s_and_not1_b32 s21, s21, exec_lo
	s_mov_b32 s20, 0
	s_mov_b32 s22, -1
	s_waitcnt lgkmcnt(0)
	flat_load_b32 v2, v[9:10] glc
	s_waitcnt vmcnt(0) lgkmcnt(0)
	buffer_gl1_inv
	buffer_gl0_inv
	v_cmp_eq_u32_e32 vcc_lo, 0, v2
	s_and_b32 s23, vcc_lo, exec_lo
	s_delay_alu instid0(SALU_CYCLE_1)
	s_or_b32 s21, s21, s23
	s_branch .LBB6_623
.LBB6_628:                              ;   in Loop: Header=BB6_558 Depth=2
	s_or_b32 exec_lo, exec_lo, s17
	s_and_saveexec_b32 s17, s18
	s_delay_alu instid0(SALU_CYCLE_1)
	s_xor_b32 s17, exec_lo, s17
	s_cbranch_execz .LBB6_630
; %bb.629:                              ;   in Loop: Header=BB6_558 Depth=2
	ds_store_b32 v0, v144
	s_cbranch_execnz .LBB6_1904
.LBB6_630:                              ;   in Loop: Header=BB6_558 Depth=2
	s_or_b32 exec_lo, exec_lo, s16
	;;#ASMSTART
	s_wakeup
	;;#ASMEND
.LBB6_631:                              ;   in Loop: Header=BB6_558 Depth=2
	s_or_b32 exec_lo, exec_lo, s15
.LBB6_632:                              ;   in Loop: Header=BB6_558 Depth=2
	s_and_not1_saveexec_b32 s14, s14
	s_cbranch_execz .LBB6_634
; %bb.633:                              ;   in Loop: Header=BB6_558 Depth=2
	s_waitcnt lgkmcnt(0)
	s_waitcnt_vscnt null, 0x0
	buffer_gl1_inv
	buffer_gl0_inv
	s_barrier
.LBB6_634:                              ;   in Loop: Header=BB6_558 Depth=2
	s_or_b32 exec_lo, exec_lo, s14
.LBB6_635:                              ;   in Loop: Header=BB6_558 Depth=2
	s_delay_alu instid0(SALU_CYCLE_1)
	s_or_b32 exec_lo, exec_lo, s13
	s_cbranch_execnz .LBB6_1532
; %bb.636:                              ;   in Loop: Header=BB6_558 Depth=2
	ds_load_b64 v[9:10], v0
	v_mov_b32_e32 v151, 0
	s_waitcnt lgkmcnt(0)
	v_cmp_eq_u64_e32 vcc_lo, 0, v[9:10]
	s_or_b32 s13, vcc_lo, vcc_lo
	s_delay_alu instid0(SALU_CYCLE_1)
	s_and_b32 vcc_lo, exec_lo, s13
	s_cbranch_vccnz .LBB6_719
; %bb.637:                              ;   in Loop: Header=BB6_558 Depth=2
	v_cmp_eq_u32_e32 vcc_lo, 0, v8
	s_cbranch_execnz .LBB6_1592
; %bb.638:                              ;   in Loop: Header=BB6_558 Depth=2
	ds_load_b64 v[69:70], v0
	v_cndmask_b32_e32 v151, 0, v68, vcc_lo
	s_waitcnt lgkmcnt(0)
	v_cmp_ne_u64_e64 s13, 0, v[69:70]
	s_delay_alu instid0(VALU_DEP_1)
	s_and_b32 vcc_lo, exec_lo, s13
	s_cbranch_vccz .LBB6_645
; %bb.639:                              ;   in Loop: Header=BB6_558 Depth=2
	s_mov_b32 s13, -1
	s_and_saveexec_b32 s14, s12
	s_cbranch_execz .LBB6_641
; %bb.640:                              ;   in Loop: Header=BB6_558 Depth=2
	ds_load_b32 v2, v0 offset:720
	s_waitcnt lgkmcnt(0)
	v_and_b32_e32 v2, 15, v2
	s_delay_alu instid0(VALU_DEP_1)
	v_cmp_eq_u32_e32 vcc_lo, 0, v2
	s_or_not1_b32 s13, vcc_lo, exec_lo
.LBB6_641:                              ;   in Loop: Header=BB6_558 Depth=2
	s_or_b32 exec_lo, exec_lo, s14
	s_and_saveexec_b32 s14, s12
	s_cbranch_execz .LBB6_643
; %bb.642:                              ;   in Loop: Header=BB6_558 Depth=2
	ds_load_b32 v2, v0 offset:784
	s_waitcnt lgkmcnt(0)
	v_and_b32_e32 v2, 15, v2
	s_delay_alu instid0(VALU_DEP_1) | instskip(SKIP_3) | instid1(SALU_CYCLE_1)
	v_cmp_eq_u32_e32 vcc_lo, 0, v2
	s_and_b32 s15, s13, vcc_lo
	s_and_not1_b32 s13, s13, exec_lo
	s_and_b32 s15, s15, exec_lo
	s_or_b32 s13, s13, s15
.LBB6_643:                              ;   in Loop: Header=BB6_558 Depth=2
	s_or_b32 exec_lo, exec_lo, s14
	s_xor_b32 s13, s13, -1
	s_delay_alu instid0(SALU_CYCLE_1) | instskip(SKIP_1) | instid1(VALU_DEP_1)
	v_cndmask_b32_e64 v2, 0, 1, s13
	;;#ASMSTART
	;;#ASMEND
	v_cmp_ne_u32_e32 vcc_lo, 0, v2
	s_mov_b32 s13, -1
	s_cbranch_vccz .LBB6_646
; %bb.644:                              ;   in Loop: Header=BB6_558 Depth=2
	v_alignbit_b32 v2, v69, v69, 1
	s_mov_b32 s13, 0
	s_mov_b32 vcc_hi, -1
	s_delay_alu instid0(VALU_DEP_1) | instskip(SKIP_1) | instid1(VALU_DEP_2)
	v_readfirstlane_b32 s14, v2
	v_readfirstlane_b32 s48, v2
	s_and_b32 s47, s14, 0x7fffffff
	s_mov_b32 s14, 0
	s_branch .LBB6_647
.LBB6_645:                              ;   in Loop: Header=BB6_558 Depth=2
	s_mov_b32 s13, -1
	s_branch .LBB6_681
.LBB6_646:                              ;   in Loop: Header=BB6_558 Depth=2
	s_mov_b32 vcc_hi, 0
                                        ; implicit-def: $sgpr14
                                        ; implicit-def: $sgpr48
                                        ; implicit-def: $sgpr47
.LBB6_647:                              ;   in Loop: Header=BB6_558 Depth=2
	s_and_not1_b32 vcc_lo, exec_lo, s13
	s_cbranch_vccnz .LBB6_665
; %bb.648:                              ;   in Loop: Header=BB6_558 Depth=2
	v_ashrrev_i32_e32 v2, 31, v151
	v_alignbit_b32 v8, v69, v69, 1
	s_mov_b32 s14, exec_lo
	s_delay_alu instid0(VALU_DEP_2) | instskip(NEXT) | instid1(VALU_DEP_2)
	v_lshrrev_b32_e32 v2, 21, v2
	v_readfirstlane_b32 s13, v8
	v_readfirstlane_b32 s48, v8
	s_delay_alu instid0(VALU_DEP_3) | instskip(NEXT) | instid1(VALU_DEP_3)
	v_add_nc_u32_e32 v2, v151, v2
	s_and_b32 s47, s13, 0x7fffffff
	s_delay_alu instid0(VALU_DEP_1) | instskip(NEXT) | instid1(VALU_DEP_1)
	v_ashrrev_i32_e32 v160, 11, v2
	v_sub_nc_u32_e32 v2, v160, v98
	s_delay_alu instid0(VALU_DEP_1)
	v_cmpx_lt_i32_e32 0, v2
	s_cbranch_execz .LBB6_653
; %bb.649:                              ;   in Loop: Header=BB6_558 Depth=2
	v_cvt_f32_u32_e32 v8, s47
	s_sub_i32 s15, 0, s47
	s_delay_alu instid0(VALU_DEP_1) | instskip(SKIP_2) | instid1(VALU_DEP_1)
	v_rcp_iflag_f32_e32 v8, v8
	s_waitcnt_depctr 0xfff
	v_mul_f32_e32 v8, 0x4f7ffffe, v8
	v_cvt_u32_f32_e32 v8, v8
	s_delay_alu instid0(VALU_DEP_1) | instskip(NEXT) | instid1(VALU_DEP_1)
	v_readfirstlane_b32 s13, v8
	s_mul_i32 s15, s15, s13
	s_delay_alu instid0(SALU_CYCLE_1) | instskip(NEXT) | instid1(SALU_CYCLE_1)
	s_mul_hi_u32 s15, s13, s15
	s_add_i32 s13, s13, s15
	s_delay_alu instid0(SALU_CYCLE_1) | instskip(NEXT) | instid1(SALU_CYCLE_1)
	s_mul_hi_u32 s13, s13, -1
	s_mul_i32 s15, s13, s47
	s_add_i32 s16, s13, 1
	s_not_b32 s15, s15
	s_delay_alu instid0(SALU_CYCLE_1)
	s_sub_i32 s17, s15, s47
	s_cmp_ge_u32 s15, s47
	s_cselect_b32 s13, s16, s13
	s_cselect_b32 s15, s17, s15
	s_add_i32 s16, s13, 1
	s_cmp_ge_u32 s15, s47
	s_mov_b32 s15, 0
	s_cselect_b32 s16, s16, s13
	s_cbranch_execnz .LBB6_1748
; %bb.650:                              ;   in Loop: Header=BB6_558 Depth=2
	ds_load_b128 v[8:11], v0
	s_cmp_lt_i32 s48, 0
	s_cselect_b32 s17, -1, 0
	s_waitcnt lgkmcnt(0)
	v_add_co_u32 v70, vcc_lo, v8, v132
	v_add_co_ci_u32_e32 v71, vcc_lo, v9, v133, vcc_lo
	v_add_co_u32 v80, vcc_lo, v10, v132
	v_add_co_ci_u32_e32 v81, vcc_lo, v11, v133, vcc_lo
	s_delay_alu instid0(VALU_DEP_3) | instskip(NEXT) | instid1(VALU_DEP_2)
	v_dual_mov_b32 v83, v71 :: v_dual_mov_b32 v82, v70
	v_dual_mov_b32 v85, v81 :: v_dual_mov_b32 v84, v80
.LBB6_651:                              ;   Parent Loop BB6_51 Depth=1
                                        ;     Parent Loop BB6_558 Depth=2
                                        ; =>    This Inner Loop Header: Depth=3
	s_clause 0x3
	global_load_b128 v[8:11], v[70:71], off slc dlc
	global_load_b128 v[12:15], v[70:71], off offset:512 slc dlc
	global_load_b128 v[16:19], v[70:71], off offset:1024 slc dlc
	;; [unrolled: 1-line block ×3, first 2 shown]
	s_clause 0x3
	global_load_b128 v[161:164], v[80:81], off slc dlc
	global_load_b128 v[176:179], v[80:81], off offset:512 slc dlc
	global_load_b128 v[72:75], v[80:81], off offset:1024 slc dlc
	global_load_b128 v[76:79], v[80:81], off offset:1536 slc dlc
	v_sub_nc_u32_e32 v2, v2, v97
	s_waitcnt vmcnt(7)
	v_and_b32_e32 v165, 0xff00ff, v8
	v_and_b32_e32 v8, 0xff00ff00, v8
	s_waitcnt vmcnt(3)
	v_and_b32_e32 v166, 0xff00ff, v161
	s_delay_alu instid0(VALU_DEP_1) | instskip(SKIP_2) | instid1(VALU_DEP_2)
	v_add_co_u32 v63, null, v166, v165
	v_and_b32_e32 v161, 0xff00ff00, v161
	v_and_b32_e32 v165, 0xff00ff, v162
	v_add_nc_u32_e32 v8, v161, v8
	v_and_b32_e32 v161, 0xff00ff, v9
	v_and_b32_e32 v9, 0xff00ff00, v9
	s_delay_alu instid0(VALU_DEP_3) | instskip(NEXT) | instid1(VALU_DEP_3)
	v_perm_b32 v88, v8, v63, 0x7020500
	v_add_co_u32 v62, null, v165, v161
	v_and_b32_e32 v161, 0xff00ff00, v162
	v_and_b32_e32 v162, 0xff00ff, v163
	s_delay_alu instid0(VALU_DEP_2) | instskip(SKIP_2) | instid1(VALU_DEP_3)
	v_add_nc_u32_e32 v61, v161, v9
	v_and_b32_e32 v161, 0xff00ff, v10
	v_and_b32_e32 v10, 0xff00ff00, v10
	v_perm_b32 v9, v61, v62, 0x7020500
	s_delay_alu instid0(VALU_DEP_3) | instskip(SKIP_2) | instid1(VALU_DEP_2)
	v_add_co_u32 v60, null, v162, v161
	v_and_b32_e32 v161, 0xff00ff00, v163
	v_and_b32_e32 v162, 0xff00ff, v164
	v_add_nc_u32_e32 v59, v161, v10
	v_and_b32_e32 v161, 0xff00ff, v11
	v_and_b32_e32 v11, 0xff00ff00, v11
	s_delay_alu instid0(VALU_DEP_2) | instskip(SKIP_3) | instid1(VALU_DEP_2)
	v_add_co_u32 v57, null, v162, v161
	v_and_b32_e32 v161, 0xff00ff00, v164
	s_waitcnt vmcnt(2)
	v_and_b32_e32 v162, 0xff00ff, v176
	v_add_nc_u32_e32 v58, v161, v11
	v_and_b32_e32 v161, 0xff00ff, v12
	v_and_b32_e32 v12, 0xff00ff00, v12
	s_delay_alu instid0(VALU_DEP_2) | instskip(SKIP_2) | instid1(VALU_DEP_2)
	v_add_co_u32 v56, null, v162, v161
	v_and_b32_e32 v161, 0xff00ff00, v176
	v_and_b32_e32 v162, 0xff00ff, v177
	v_add_nc_u32_e32 v12, v161, v12
	v_and_b32_e32 v161, 0xff00ff, v13
	v_and_b32_e32 v13, 0xff00ff00, v13
	s_delay_alu instid0(VALU_DEP_2) | instskip(SKIP_2) | instid1(VALU_DEP_2)
	v_add_co_u32 v46, null, v162, v161
	v_and_b32_e32 v161, 0xff00ff00, v177
	;; [unrolled: 7-line block ×3, first 2 shown]
	v_and_b32_e32 v162, 0xff00ff, v179
	v_add_nc_u32_e32 v43, v161, v14
	v_and_b32_e32 v161, 0xff00ff, v15
	v_and_b32_e32 v15, 0xff00ff00, v15
	s_delay_alu instid0(VALU_DEP_2) | instskip(SKIP_3) | instid1(VALU_DEP_2)
	v_add_co_u32 v41, null, v162, v161
	v_and_b32_e32 v161, 0xff00ff00, v179
	s_waitcnt vmcnt(1)
	v_and_b32_e32 v162, 0xff00ff, v72
	v_add_nc_u32_e32 v42, v161, v15
	v_and_b32_e32 v161, 0xff00ff, v16
	v_and_b32_e32 v16, 0xff00ff00, v16
	s_delay_alu instid0(VALU_DEP_2) | instskip(SKIP_3) | instid1(VALU_DEP_3)
	v_add_co_u32 v40, null, v162, v161
	v_and_b32_e32 v161, 0xff00ff00, v72
	v_bfe_i32 v72, v63, 0, 8
	v_and_b32_e32 v162, 0xff00ff, v73
	v_add_nc_u32_e32 v16, v161, v16
	s_delay_alu instid0(VALU_DEP_3) | instskip(SKIP_4) | instid1(VALU_DEP_3)
	v_cmp_gt_i16_e32 vcc_lo, 0, v72
	v_sub_nc_u16 v72, 0, v63
	v_and_b32_e32 v161, 0xff00ff, v17
	v_and_b32_e32 v17, 0xff00ff00, v17
	s_and_b32 vcc_lo, s17, vcc_lo
	v_cndmask_b32_e32 v72, v63, v72, vcc_lo
	s_delay_alu instid0(VALU_DEP_3) | instskip(SKIP_2) | instid1(VALU_DEP_4)
	v_add_co_u32 v182, null, v162, v161
	v_and_b32_e32 v161, 0xff00ff00, v73
	v_and_b32_e32 v162, 0xff00ff, v74
	;; [unrolled: 1-line block ×3, first 2 shown]
	v_lshrrev_b32_e32 v63, 16, v63
	s_delay_alu instid0(VALU_DEP_4) | instskip(SKIP_1) | instid1(VALU_DEP_4)
	v_add_nc_u32_e32 v181, v161, v17
	v_and_b32_e32 v161, 0xff00ff, v18
	v_mul_hi_u32 v73, v72, s16
	v_and_b32_e32 v18, 0xff00ff00, v18
	s_delay_alu instid0(VALU_DEP_3) | instskip(SKIP_3) | instid1(VALU_DEP_3)
	v_add_co_u32 v180, null, v162, v161
	v_and_b32_e32 v161, 0xff00ff00, v74
	v_and_b32_e32 v162, 0xff00ff, v75
	v_mul_lo_u32 v74, s47, v73
	v_add_nc_u32_e32 v179, v161, v18
	v_and_b32_e32 v161, 0xff00ff, v19
	s_delay_alu instid0(VALU_DEP_3) | instskip(SKIP_1) | instid1(VALU_DEP_3)
	v_sub_nc_u32_e32 v72, v72, v74
	v_and_b32_e32 v74, 0x8000, v88
	v_add_co_u32 v177, null, v162, v161
	v_and_b32_e32 v161, 0xff00ff00, v75
	s_delay_alu instid0(VALU_DEP_4) | instskip(NEXT) | instid1(VALU_DEP_1)
	v_cmp_le_u32_e64 s13, s47, v72
	v_add_co_ci_u32_e64 v72, s13, 0, v73, s13
	s_delay_alu instid0(VALU_DEP_1) | instskip(NEXT) | instid1(VALU_DEP_1)
	v_sub_nc_u32_e32 v73, 0, v72
	v_cndmask_b32_e32 v72, v72, v73, vcc_lo
	v_lshrrev_b32_e32 v73, 8, v8
	v_cmp_ne_u32_e32 vcc_lo, 0, v74
	s_delay_alu instid0(VALU_DEP_2) | instskip(SKIP_1) | instid1(VALU_DEP_1)
	v_sub_nc_u16 v74, 0, v73
	s_and_b32 vcc_lo, s17, vcc_lo
	v_cndmask_b32_e32 v73, v73, v74, vcc_lo
	s_delay_alu instid0(VALU_DEP_1) | instskip(NEXT) | instid1(VALU_DEP_1)
	v_and_b32_e32 v73, 0xff, v73
	v_mul_hi_u32 v74, v73, s16
	s_delay_alu instid0(VALU_DEP_1) | instskip(NEXT) | instid1(VALU_DEP_1)
	v_mul_lo_u32 v75, s47, v74
	v_sub_nc_u32_e32 v73, v73, v75
	s_delay_alu instid0(VALU_DEP_1) | instskip(NEXT) | instid1(VALU_DEP_1)
	v_cmp_le_u32_e64 s13, s47, v73
	v_add_co_ci_u32_e64 v73, s13, 0, v74, s13
	s_delay_alu instid0(VALU_DEP_1) | instskip(NEXT) | instid1(VALU_DEP_1)
	v_sub_nc_u32_e32 v74, 0, v73
	v_cndmask_b32_e32 v73, v73, v74, vcc_lo
	v_bfe_i32 v74, v63, 0, 8
	s_delay_alu instid0(VALU_DEP_2) | instskip(NEXT) | instid1(VALU_DEP_2)
	v_lshlrev_b32_e32 v73, 8, v73
	v_cmp_gt_i16_e32 vcc_lo, 0, v74
	v_sub_nc_u16 v74, 0, v63
	s_delay_alu instid0(VALU_DEP_3) | instskip(SKIP_1) | instid1(VALU_DEP_2)
	v_perm_b32 v72, v73, v72, 0xc0c0500
	s_and_b32 vcc_lo, s17, vcc_lo
	v_cndmask_b32_e32 v63, v63, v74, vcc_lo
	v_lshrrev_b32_e32 v8, 24, v8
	s_delay_alu instid0(VALU_DEP_2) | instskip(NEXT) | instid1(VALU_DEP_1)
	v_and_b32_e32 v63, 0xff, v63
	v_mul_hi_u32 v74, v63, s16
	s_delay_alu instid0(VALU_DEP_1) | instskip(NEXT) | instid1(VALU_DEP_1)
	v_mul_lo_u32 v75, s47, v74
	v_sub_nc_u32_e32 v63, v63, v75
	s_delay_alu instid0(VALU_DEP_1) | instskip(NEXT) | instid1(VALU_DEP_1)
	v_cmp_le_u32_e64 s13, s47, v63
	v_add_co_ci_u32_e64 v63, s13, 0, v74, s13
	s_delay_alu instid0(VALU_DEP_1) | instskip(NEXT) | instid1(VALU_DEP_1)
	v_sub_nc_u32_e32 v74, 0, v63
	v_dual_cndmask_b32 v63, v63, v74 :: v_dual_and_b32 v74, s48, v88
	s_delay_alu instid0(VALU_DEP_1) | instskip(NEXT) | instid1(VALU_DEP_2)
	v_and_b32_e32 v63, 0xff, v63
	v_cmp_lt_i32_e32 vcc_lo, -1, v74
	v_sub_nc_u16 v74, 0, v8
	s_delay_alu instid0(VALU_DEP_1) | instskip(NEXT) | instid1(VALU_DEP_1)
	v_dual_cndmask_b32 v8, v74, v8 :: v_dual_lshlrev_b32 v63, 16, v63
	v_and_b32_e32 v8, 0xff, v8
	s_delay_alu instid0(VALU_DEP_1) | instskip(NEXT) | instid1(VALU_DEP_1)
	v_mul_hi_u32 v74, v8, s16
	v_mul_lo_u32 v75, s47, v74
	s_delay_alu instid0(VALU_DEP_1) | instskip(NEXT) | instid1(VALU_DEP_1)
	v_sub_nc_u32_e32 v8, v8, v75
	v_cmp_le_u32_e64 s13, s47, v8
	s_delay_alu instid0(VALU_DEP_1) | instskip(NEXT) | instid1(VALU_DEP_1)
	v_add_co_ci_u32_e64 v8, s13, 0, v74, s13
	v_sub_nc_u32_e32 v74, 0, v8
	s_delay_alu instid0(VALU_DEP_1) | instskip(NEXT) | instid1(VALU_DEP_1)
	v_cndmask_b32_e32 v8, v74, v8, vcc_lo
	v_lshlrev_b32_e32 v8, 24, v8
	s_delay_alu instid0(VALU_DEP_1) | instskip(SKIP_1) | instid1(VALU_DEP_1)
	v_or3_b32 v8, v8, v63, v72
	v_bfe_i32 v63, v62, 0, 8
	v_cmp_gt_i16_e32 vcc_lo, 0, v63
	v_sub_nc_u16 v63, 0, v62
	s_and_b32 vcc_lo, s17, vcc_lo
	s_delay_alu instid0(VALU_DEP_1) | instskip(SKIP_1) | instid1(VALU_DEP_2)
	v_cndmask_b32_e32 v63, v62, v63, vcc_lo
	v_lshrrev_b32_e32 v62, 16, v62
	v_and_b32_e32 v63, 0xff, v63
	s_delay_alu instid0(VALU_DEP_1) | instskip(NEXT) | instid1(VALU_DEP_1)
	v_mul_hi_u32 v72, v63, s16
	v_mul_lo_u32 v73, s47, v72
	s_delay_alu instid0(VALU_DEP_1) | instskip(SKIP_2) | instid1(VALU_DEP_3)
	v_sub_nc_u32_e32 v63, v63, v73
	v_and_b32_e32 v73, 0x8000, v9
	v_and_b32_e32 v9, s48, v9
	v_cmp_le_u32_e64 s13, s47, v63
	s_delay_alu instid0(VALU_DEP_1) | instskip(NEXT) | instid1(VALU_DEP_1)
	v_add_co_ci_u32_e64 v63, s13, 0, v72, s13
	v_sub_nc_u32_e32 v72, 0, v63
	s_delay_alu instid0(VALU_DEP_1) | instskip(SKIP_4) | instid1(VALU_DEP_4)
	v_cndmask_b32_e32 v63, v63, v72, vcc_lo
	v_lshrrev_b32_e32 v72, 8, v61
	v_cmp_ne_u32_e32 vcc_lo, 0, v73
	v_lshrrev_b32_e32 v61, 24, v61
	v_perm_b32 v11, v58, v57, 0x7020500
	v_sub_nc_u16 v73, 0, v72
	s_and_b32 vcc_lo, s17, vcc_lo
	s_delay_alu instid0(VALU_DEP_1) | instskip(NEXT) | instid1(VALU_DEP_1)
	v_cndmask_b32_e32 v72, v72, v73, vcc_lo
	v_and_b32_e32 v72, 0xff, v72
	s_delay_alu instid0(VALU_DEP_1) | instskip(NEXT) | instid1(VALU_DEP_1)
	v_mul_hi_u32 v73, v72, s16
	v_mul_lo_u32 v74, s47, v73
	s_delay_alu instid0(VALU_DEP_1) | instskip(NEXT) | instid1(VALU_DEP_1)
	v_sub_nc_u32_e32 v72, v72, v74
	v_cmp_le_u32_e64 s13, s47, v72
	s_delay_alu instid0(VALU_DEP_1) | instskip(NEXT) | instid1(VALU_DEP_1)
	v_add_co_ci_u32_e64 v72, s13, 0, v73, s13
	v_sub_nc_u32_e32 v73, 0, v72
	s_delay_alu instid0(VALU_DEP_1) | instskip(SKIP_1) | instid1(VALU_DEP_2)
	v_cndmask_b32_e32 v72, v72, v73, vcc_lo
	v_bfe_i32 v73, v62, 0, 8
	v_lshlrev_b32_e32 v72, 8, v72
	s_delay_alu instid0(VALU_DEP_2) | instskip(SKIP_2) | instid1(VALU_DEP_1)
	v_cmp_gt_i16_e32 vcc_lo, 0, v73
	v_sub_nc_u16 v73, 0, v62
	s_and_b32 vcc_lo, s17, vcc_lo
	v_cndmask_b32_e32 v62, v62, v73, vcc_lo
	s_delay_alu instid0(VALU_DEP_1) | instskip(NEXT) | instid1(VALU_DEP_1)
	v_and_b32_e32 v62, 0xff, v62
	v_mul_hi_u32 v73, v62, s16
	s_delay_alu instid0(VALU_DEP_1) | instskip(NEXT) | instid1(VALU_DEP_1)
	v_mul_lo_u32 v74, s47, v73
	v_sub_nc_u32_e32 v62, v62, v74
	s_delay_alu instid0(VALU_DEP_1) | instskip(NEXT) | instid1(VALU_DEP_1)
	v_cmp_le_u32_e64 s13, s47, v62
	v_add_co_ci_u32_e64 v62, s13, 0, v73, s13
	s_delay_alu instid0(VALU_DEP_1) | instskip(NEXT) | instid1(VALU_DEP_1)
	v_sub_nc_u32_e32 v73, 0, v62
	v_cndmask_b32_e32 v62, v62, v73, vcc_lo
	v_cmp_lt_i32_e32 vcc_lo, -1, v9
	v_sub_nc_u16 v9, 0, v61
	v_perm_b32 v10, v59, v60, 0x7020500
	s_delay_alu instid0(VALU_DEP_2) | instskip(NEXT) | instid1(VALU_DEP_1)
	v_dual_cndmask_b32 v9, v9, v61 :: v_dual_and_b32 v62, 0xff, v62
	v_and_b32_e32 v9, 0xff, v9
	s_delay_alu instid0(VALU_DEP_1) | instskip(NEXT) | instid1(VALU_DEP_1)
	v_mul_hi_u32 v61, v9, s16
	v_mul_lo_u32 v73, s47, v61
	s_delay_alu instid0(VALU_DEP_1) | instskip(NEXT) | instid1(VALU_DEP_1)
	v_sub_nc_u32_e32 v9, v9, v73
	v_cmp_le_u32_e64 s13, s47, v9
	s_delay_alu instid0(VALU_DEP_1) | instskip(NEXT) | instid1(VALU_DEP_1)
	v_add_co_ci_u32_e64 v9, s13, 0, v61, s13
	v_sub_nc_u32_e32 v61, 0, v9
	s_delay_alu instid0(VALU_DEP_1) | instskip(SKIP_2) | instid1(VALU_DEP_3)
	v_cndmask_b32_e32 v9, v61, v9, vcc_lo
	v_lshlrev_b32_e32 v61, 16, v62
	v_perm_b32 v62, v72, v63, 0xc0c0500
	v_lshlrev_b32_e32 v9, 24, v9
	s_delay_alu instid0(VALU_DEP_1) | instskip(SKIP_1) | instid1(VALU_DEP_1)
	v_or3_b32 v9, v9, v61, v62
	v_bfe_i32 v61, v60, 0, 8
	v_cmp_gt_i16_e32 vcc_lo, 0, v61
	v_sub_nc_u16 v61, 0, v60
	s_and_b32 vcc_lo, s17, vcc_lo
	s_delay_alu instid0(VALU_DEP_1) | instskip(SKIP_1) | instid1(VALU_DEP_2)
	v_cndmask_b32_e32 v61, v60, v61, vcc_lo
	v_lshrrev_b32_e32 v60, 16, v60
	v_and_b32_e32 v61, 0xff, v61
	s_delay_alu instid0(VALU_DEP_1) | instskip(NEXT) | instid1(VALU_DEP_1)
	v_mul_hi_u32 v62, v61, s16
	v_mul_lo_u32 v63, s47, v62
	s_delay_alu instid0(VALU_DEP_1) | instskip(SKIP_2) | instid1(VALU_DEP_3)
	v_sub_nc_u32_e32 v61, v61, v63
	v_and_b32_e32 v63, 0x8000, v10
	v_and_b32_e32 v10, s48, v10
	v_cmp_le_u32_e64 s13, s47, v61
	s_delay_alu instid0(VALU_DEP_1) | instskip(NEXT) | instid1(VALU_DEP_1)
	v_add_co_ci_u32_e64 v61, s13, 0, v62, s13
	v_sub_nc_u32_e32 v62, 0, v61
	s_delay_alu instid0(VALU_DEP_1) | instskip(SKIP_3) | instid1(VALU_DEP_3)
	v_cndmask_b32_e32 v61, v61, v62, vcc_lo
	v_lshrrev_b32_e32 v62, 8, v59
	v_cmp_ne_u32_e32 vcc_lo, 0, v63
	v_lshrrev_b32_e32 v59, 24, v59
	v_sub_nc_u16 v63, 0, v62
	s_and_b32 vcc_lo, s17, vcc_lo
	s_delay_alu instid0(VALU_DEP_1) | instskip(NEXT) | instid1(VALU_DEP_1)
	v_cndmask_b32_e32 v62, v62, v63, vcc_lo
	v_and_b32_e32 v62, 0xff, v62
	s_delay_alu instid0(VALU_DEP_1) | instskip(NEXT) | instid1(VALU_DEP_1)
	v_mul_hi_u32 v63, v62, s16
	v_mul_lo_u32 v72, s47, v63
	s_delay_alu instid0(VALU_DEP_1) | instskip(NEXT) | instid1(VALU_DEP_1)
	v_sub_nc_u32_e32 v62, v62, v72
	v_cmp_le_u32_e64 s13, s47, v62
	s_delay_alu instid0(VALU_DEP_1) | instskip(NEXT) | instid1(VALU_DEP_1)
	v_add_co_ci_u32_e64 v62, s13, 0, v63, s13
	v_sub_nc_u32_e32 v63, 0, v62
	s_delay_alu instid0(VALU_DEP_1) | instskip(SKIP_1) | instid1(VALU_DEP_2)
	v_cndmask_b32_e32 v62, v62, v63, vcc_lo
	v_bfe_i32 v63, v60, 0, 8
	v_lshlrev_b32_e32 v62, 8, v62
	s_delay_alu instid0(VALU_DEP_2) | instskip(SKIP_2) | instid1(VALU_DEP_1)
	v_cmp_gt_i16_e32 vcc_lo, 0, v63
	v_sub_nc_u16 v63, 0, v60
	s_and_b32 vcc_lo, s17, vcc_lo
	v_cndmask_b32_e32 v60, v60, v63, vcc_lo
	s_delay_alu instid0(VALU_DEP_1) | instskip(NEXT) | instid1(VALU_DEP_1)
	v_and_b32_e32 v60, 0xff, v60
	v_mul_hi_u32 v63, v60, s16
	s_delay_alu instid0(VALU_DEP_1) | instskip(NEXT) | instid1(VALU_DEP_1)
	v_mul_lo_u32 v72, s47, v63
	v_sub_nc_u32_e32 v60, v60, v72
	s_delay_alu instid0(VALU_DEP_1) | instskip(NEXT) | instid1(VALU_DEP_1)
	v_cmp_le_u32_e64 s13, s47, v60
	v_add_co_ci_u32_e64 v60, s13, 0, v63, s13
	s_delay_alu instid0(VALU_DEP_1) | instskip(NEXT) | instid1(VALU_DEP_1)
	v_sub_nc_u32_e32 v63, 0, v60
	v_cndmask_b32_e32 v60, v60, v63, vcc_lo
	v_cmp_lt_i32_e32 vcc_lo, -1, v10
	v_sub_nc_u16 v10, 0, v59
	s_delay_alu instid0(VALU_DEP_3) | instskip(NEXT) | instid1(VALU_DEP_2)
	v_and_b32_e32 v60, 0xff, v60
	v_cndmask_b32_e32 v10, v10, v59, vcc_lo
	s_delay_alu instid0(VALU_DEP_1) | instskip(NEXT) | instid1(VALU_DEP_1)
	v_and_b32_e32 v10, 0xff, v10
	v_mul_hi_u32 v59, v10, s16
	s_delay_alu instid0(VALU_DEP_1) | instskip(NEXT) | instid1(VALU_DEP_1)
	v_mul_lo_u32 v63, s47, v59
	v_sub_nc_u32_e32 v10, v10, v63
	s_delay_alu instid0(VALU_DEP_1) | instskip(NEXT) | instid1(VALU_DEP_1)
	v_cmp_le_u32_e64 s13, s47, v10
	v_add_co_ci_u32_e64 v10, s13, 0, v59, s13
	s_delay_alu instid0(VALU_DEP_1) | instskip(NEXT) | instid1(VALU_DEP_1)
	v_sub_nc_u32_e32 v59, 0, v10
	v_dual_cndmask_b32 v10, v59, v10 :: v_dual_lshlrev_b32 v59, 16, v60
	v_perm_b32 v60, v62, v61, 0xc0c0500
	s_delay_alu instid0(VALU_DEP_2) | instskip(NEXT) | instid1(VALU_DEP_1)
	v_lshlrev_b32_e32 v10, 24, v10
	v_or3_b32 v10, v10, v59, v60
	v_bfe_i32 v59, v57, 0, 8
	s_delay_alu instid0(VALU_DEP_1) | instskip(SKIP_2) | instid1(VALU_DEP_1)
	v_cmp_gt_i16_e32 vcc_lo, 0, v59
	v_sub_nc_u16 v59, 0, v57
	s_and_b32 vcc_lo, s17, vcc_lo
	v_cndmask_b32_e32 v59, v57, v59, vcc_lo
	v_lshrrev_b32_e32 v57, 16, v57
	s_delay_alu instid0(VALU_DEP_2) | instskip(NEXT) | instid1(VALU_DEP_1)
	v_and_b32_e32 v59, 0xff, v59
	v_mul_hi_u32 v60, v59, s16
	s_delay_alu instid0(VALU_DEP_1) | instskip(NEXT) | instid1(VALU_DEP_1)
	v_mul_lo_u32 v61, s47, v60
	v_sub_nc_u32_e32 v59, v59, v61
	v_and_b32_e32 v61, 0x8000, v11
	v_and_b32_e32 v11, s48, v11
	s_delay_alu instid0(VALU_DEP_3) | instskip(NEXT) | instid1(VALU_DEP_1)
	v_cmp_le_u32_e64 s13, s47, v59
	v_add_co_ci_u32_e64 v59, s13, 0, v60, s13
	s_delay_alu instid0(VALU_DEP_1) | instskip(NEXT) | instid1(VALU_DEP_1)
	v_sub_nc_u32_e32 v60, 0, v59
	v_cndmask_b32_e32 v59, v59, v60, vcc_lo
	v_lshrrev_b32_e32 v60, 8, v58
	v_cmp_ne_u32_e32 vcc_lo, 0, v61
	v_lshrrev_b32_e32 v58, 24, v58
	s_delay_alu instid0(VALU_DEP_3) | instskip(SKIP_1) | instid1(VALU_DEP_1)
	v_sub_nc_u16 v61, 0, v60
	s_and_b32 vcc_lo, s17, vcc_lo
	v_cndmask_b32_e32 v60, v60, v61, vcc_lo
	s_delay_alu instid0(VALU_DEP_1) | instskip(NEXT) | instid1(VALU_DEP_1)
	v_and_b32_e32 v60, 0xff, v60
	v_mul_hi_u32 v61, v60, s16
	s_delay_alu instid0(VALU_DEP_1) | instskip(NEXT) | instid1(VALU_DEP_1)
	v_mul_lo_u32 v62, s47, v61
	v_sub_nc_u32_e32 v60, v60, v62
	s_delay_alu instid0(VALU_DEP_1) | instskip(NEXT) | instid1(VALU_DEP_1)
	v_cmp_le_u32_e64 s13, s47, v60
	v_add_co_ci_u32_e64 v60, s13, 0, v61, s13
	s_delay_alu instid0(VALU_DEP_1) | instskip(NEXT) | instid1(VALU_DEP_1)
	v_sub_nc_u32_e32 v61, 0, v60
	v_cndmask_b32_e32 v60, v60, v61, vcc_lo
	v_bfe_i32 v61, v57, 0, 8
	s_delay_alu instid0(VALU_DEP_2) | instskip(NEXT) | instid1(VALU_DEP_2)
	v_lshlrev_b32_e32 v60, 8, v60
	v_cmp_gt_i16_e32 vcc_lo, 0, v61
	v_sub_nc_u16 v61, 0, v57
	s_and_b32 vcc_lo, s17, vcc_lo
	s_delay_alu instid0(VALU_DEP_1) | instskip(NEXT) | instid1(VALU_DEP_1)
	v_cndmask_b32_e32 v57, v57, v61, vcc_lo
	v_and_b32_e32 v57, 0xff, v57
	s_delay_alu instid0(VALU_DEP_1) | instskip(NEXT) | instid1(VALU_DEP_1)
	v_mul_hi_u32 v61, v57, s16
	v_mul_lo_u32 v62, s47, v61
	s_delay_alu instid0(VALU_DEP_1) | instskip(NEXT) | instid1(VALU_DEP_1)
	v_sub_nc_u32_e32 v57, v57, v62
	v_cmp_le_u32_e64 s13, s47, v57
	s_delay_alu instid0(VALU_DEP_1) | instskip(NEXT) | instid1(VALU_DEP_1)
	v_add_co_ci_u32_e64 v57, s13, 0, v61, s13
	v_sub_nc_u32_e32 v61, 0, v57
	s_delay_alu instid0(VALU_DEP_1) | instskip(SKIP_2) | instid1(VALU_DEP_3)
	v_cndmask_b32_e32 v57, v57, v61, vcc_lo
	v_cmp_lt_i32_e32 vcc_lo, -1, v11
	v_sub_nc_u16 v11, 0, v58
	v_and_b32_e32 v57, 0xff, v57
	s_delay_alu instid0(VALU_DEP_2) | instskip(SKIP_1) | instid1(VALU_DEP_3)
	v_cndmask_b32_e32 v11, v11, v58, vcc_lo
	v_perm_b32 v47, v12, v56, 0x7020500
	v_lshlrev_b32_e32 v57, 16, v57
	s_delay_alu instid0(VALU_DEP_3) | instskip(NEXT) | instid1(VALU_DEP_1)
	v_and_b32_e32 v11, 0xff, v11
	v_mul_hi_u32 v58, v11, s16
	s_delay_alu instid0(VALU_DEP_1) | instskip(NEXT) | instid1(VALU_DEP_1)
	v_mul_lo_u32 v61, s47, v58
	v_sub_nc_u32_e32 v11, v11, v61
	s_delay_alu instid0(VALU_DEP_1) | instskip(NEXT) | instid1(VALU_DEP_1)
	v_cmp_le_u32_e64 s13, s47, v11
	v_add_co_ci_u32_e64 v11, s13, 0, v58, s13
	s_delay_alu instid0(VALU_DEP_1) | instskip(NEXT) | instid1(VALU_DEP_1)
	v_sub_nc_u32_e32 v58, 0, v11
	v_cndmask_b32_e32 v11, v58, v11, vcc_lo
	v_perm_b32 v58, v60, v59, 0xc0c0500
	s_delay_alu instid0(VALU_DEP_2) | instskip(NEXT) | instid1(VALU_DEP_1)
	v_lshlrev_b32_e32 v11, 24, v11
	v_or3_b32 v11, v11, v57, v58
	v_bfe_i32 v57, v56, 0, 8
	s_delay_alu instid0(VALU_DEP_1) | instskip(SKIP_2) | instid1(VALU_DEP_1)
	v_cmp_gt_i16_e32 vcc_lo, 0, v57
	v_sub_nc_u16 v57, 0, v56
	s_and_b32 vcc_lo, s17, vcc_lo
	v_cndmask_b32_e32 v57, v56, v57, vcc_lo
	v_lshrrev_b32_e32 v56, 16, v56
	v_perm_b32 v15, v42, v41, 0x7020500
	s_delay_alu instid0(VALU_DEP_3) | instskip(NEXT) | instid1(VALU_DEP_1)
	v_and_b32_e32 v57, 0xff, v57
	v_mul_hi_u32 v58, v57, s16
	s_delay_alu instid0(VALU_DEP_1) | instskip(NEXT) | instid1(VALU_DEP_1)
	v_mul_lo_u32 v59, s47, v58
	v_sub_nc_u32_e32 v57, v57, v59
	v_and_b32_e32 v59, 0x8000, v47
	v_and_b32_e32 v47, s48, v47
	s_delay_alu instid0(VALU_DEP_3) | instskip(NEXT) | instid1(VALU_DEP_1)
	v_cmp_le_u32_e64 s13, s47, v57
	v_add_co_ci_u32_e64 v57, s13, 0, v58, s13
	s_delay_alu instid0(VALU_DEP_1) | instskip(NEXT) | instid1(VALU_DEP_1)
	v_sub_nc_u32_e32 v58, 0, v57
	v_cndmask_b32_e32 v57, v57, v58, vcc_lo
	v_lshrrev_b32_e32 v58, 8, v12
	v_cmp_ne_u32_e32 vcc_lo, 0, v59
	v_lshrrev_b32_e32 v12, 24, v12
	s_delay_alu instid0(VALU_DEP_3) | instskip(SKIP_1) | instid1(VALU_DEP_1)
	v_sub_nc_u16 v59, 0, v58
	s_and_b32 vcc_lo, s17, vcc_lo
	v_cndmask_b32_e32 v58, v58, v59, vcc_lo
	s_delay_alu instid0(VALU_DEP_1) | instskip(NEXT) | instid1(VALU_DEP_1)
	v_and_b32_e32 v58, 0xff, v58
	v_mul_hi_u32 v59, v58, s16
	s_delay_alu instid0(VALU_DEP_1) | instskip(NEXT) | instid1(VALU_DEP_1)
	v_mul_lo_u32 v60, s47, v59
	v_sub_nc_u32_e32 v58, v58, v60
	s_delay_alu instid0(VALU_DEP_1) | instskip(NEXT) | instid1(VALU_DEP_1)
	v_cmp_le_u32_e64 s13, s47, v58
	v_add_co_ci_u32_e64 v58, s13, 0, v59, s13
	s_delay_alu instid0(VALU_DEP_1) | instskip(NEXT) | instid1(VALU_DEP_1)
	v_sub_nc_u32_e32 v59, 0, v58
	v_cndmask_b32_e32 v58, v58, v59, vcc_lo
	v_bfe_i32 v59, v56, 0, 8
	s_delay_alu instid0(VALU_DEP_2) | instskip(NEXT) | instid1(VALU_DEP_2)
	v_lshlrev_b32_e32 v58, 8, v58
	v_cmp_gt_i16_e32 vcc_lo, 0, v59
	v_sub_nc_u16 v59, 0, v56
	s_and_b32 vcc_lo, s17, vcc_lo
	s_delay_alu instid0(VALU_DEP_1) | instskip(NEXT) | instid1(VALU_DEP_1)
	v_cndmask_b32_e32 v56, v56, v59, vcc_lo
	v_and_b32_e32 v56, 0xff, v56
	s_delay_alu instid0(VALU_DEP_1) | instskip(NEXT) | instid1(VALU_DEP_1)
	v_mul_hi_u32 v59, v56, s16
	v_mul_lo_u32 v60, s47, v59
	s_delay_alu instid0(VALU_DEP_1) | instskip(NEXT) | instid1(VALU_DEP_1)
	v_sub_nc_u32_e32 v56, v56, v60
	v_cmp_le_u32_e64 s13, s47, v56
	s_delay_alu instid0(VALU_DEP_1) | instskip(NEXT) | instid1(VALU_DEP_1)
	v_add_co_ci_u32_e64 v56, s13, 0, v59, s13
	v_sub_nc_u32_e32 v59, 0, v56
	s_delay_alu instid0(VALU_DEP_1) | instskip(SKIP_3) | instid1(VALU_DEP_4)
	v_cndmask_b32_e32 v56, v56, v59, vcc_lo
	v_cmp_lt_i32_e32 vcc_lo, -1, v47
	v_sub_nc_u16 v47, 0, v12
	v_perm_b32 v13, v45, v46, 0x7020500
	v_and_b32_e32 v56, 0xff, v56
	s_delay_alu instid0(VALU_DEP_3) | instskip(NEXT) | instid1(VALU_DEP_1)
	v_cndmask_b32_e32 v12, v47, v12, vcc_lo
	v_and_b32_e32 v12, 0xff, v12
	s_delay_alu instid0(VALU_DEP_1) | instskip(NEXT) | instid1(VALU_DEP_1)
	v_mul_hi_u32 v47, v12, s16
	v_mul_lo_u32 v59, s47, v47
	s_delay_alu instid0(VALU_DEP_1) | instskip(NEXT) | instid1(VALU_DEP_1)
	v_sub_nc_u32_e32 v12, v12, v59
	v_cmp_le_u32_e64 s13, s47, v12
	s_delay_alu instid0(VALU_DEP_1) | instskip(NEXT) | instid1(VALU_DEP_1)
	v_add_co_ci_u32_e64 v12, s13, 0, v47, s13
	v_sub_nc_u32_e32 v47, 0, v12
	s_delay_alu instid0(VALU_DEP_1) | instskip(SKIP_3) | instid1(VALU_DEP_4)
	v_cndmask_b32_e32 v12, v47, v12, vcc_lo
	v_lshlrev_b32_e32 v47, 16, v56
	v_perm_b32 v56, v58, v57, 0xc0c0500
	v_perm_b32 v14, v43, v44, 0x7020500
	v_lshlrev_b32_e32 v12, 24, v12
	s_delay_alu instid0(VALU_DEP_1) | instskip(SKIP_1) | instid1(VALU_DEP_1)
	v_or3_b32 v12, v12, v47, v56
	v_bfe_i32 v47, v46, 0, 8
	v_cmp_gt_i16_e32 vcc_lo, 0, v47
	v_sub_nc_u16 v47, 0, v46
	s_and_b32 vcc_lo, s17, vcc_lo
	s_delay_alu instid0(VALU_DEP_1) | instskip(SKIP_2) | instid1(VALU_DEP_3)
	v_cndmask_b32_e32 v47, v46, v47, vcc_lo
	v_lshrrev_b32_e32 v46, 16, v46
	v_perm_b32 v183, v16, v40, 0x7020500
	v_and_b32_e32 v47, 0xff, v47
	s_delay_alu instid0(VALU_DEP_1) | instskip(NEXT) | instid1(VALU_DEP_1)
	v_mul_hi_u32 v56, v47, s16
	v_mul_lo_u32 v57, s47, v56
	s_delay_alu instid0(VALU_DEP_1) | instskip(SKIP_2) | instid1(VALU_DEP_3)
	v_sub_nc_u32_e32 v47, v47, v57
	v_and_b32_e32 v57, 0x8000, v13
	v_and_b32_e32 v13, s48, v13
	v_cmp_le_u32_e64 s13, s47, v47
	s_delay_alu instid0(VALU_DEP_1) | instskip(NEXT) | instid1(VALU_DEP_1)
	v_add_co_ci_u32_e64 v47, s13, 0, v56, s13
	v_sub_nc_u32_e32 v56, 0, v47
	s_delay_alu instid0(VALU_DEP_1) | instskip(SKIP_3) | instid1(VALU_DEP_3)
	v_cndmask_b32_e32 v47, v47, v56, vcc_lo
	v_lshrrev_b32_e32 v56, 8, v45
	v_cmp_ne_u32_e32 vcc_lo, 0, v57
	v_lshrrev_b32_e32 v45, 24, v45
	v_sub_nc_u16 v57, 0, v56
	s_and_b32 vcc_lo, s17, vcc_lo
	s_delay_alu instid0(VALU_DEP_1) | instskip(NEXT) | instid1(VALU_DEP_1)
	v_cndmask_b32_e32 v56, v56, v57, vcc_lo
	v_and_b32_e32 v56, 0xff, v56
	s_delay_alu instid0(VALU_DEP_1) | instskip(NEXT) | instid1(VALU_DEP_1)
	v_mul_hi_u32 v57, v56, s16
	v_mul_lo_u32 v58, s47, v57
	s_delay_alu instid0(VALU_DEP_1) | instskip(NEXT) | instid1(VALU_DEP_1)
	v_sub_nc_u32_e32 v56, v56, v58
	v_cmp_le_u32_e64 s13, s47, v56
	s_delay_alu instid0(VALU_DEP_1) | instskip(NEXT) | instid1(VALU_DEP_1)
	v_add_co_ci_u32_e64 v56, s13, 0, v57, s13
	v_sub_nc_u32_e32 v57, 0, v56
	s_delay_alu instid0(VALU_DEP_1) | instskip(SKIP_1) | instid1(VALU_DEP_2)
	v_cndmask_b32_e32 v56, v56, v57, vcc_lo
	v_bfe_i32 v57, v46, 0, 8
	v_lshlrev_b32_e32 v56, 8, v56
	s_delay_alu instid0(VALU_DEP_2) | instskip(SKIP_2) | instid1(VALU_DEP_1)
	v_cmp_gt_i16_e32 vcc_lo, 0, v57
	v_sub_nc_u16 v57, 0, v46
	s_and_b32 vcc_lo, s17, vcc_lo
	v_cndmask_b32_e32 v46, v46, v57, vcc_lo
	s_delay_alu instid0(VALU_DEP_1) | instskip(NEXT) | instid1(VALU_DEP_1)
	v_and_b32_e32 v46, 0xff, v46
	v_mul_hi_u32 v57, v46, s16
	s_delay_alu instid0(VALU_DEP_1) | instskip(NEXT) | instid1(VALU_DEP_1)
	v_mul_lo_u32 v58, s47, v57
	v_sub_nc_u32_e32 v46, v46, v58
	s_delay_alu instid0(VALU_DEP_1) | instskip(NEXT) | instid1(VALU_DEP_1)
	v_cmp_le_u32_e64 s13, s47, v46
	v_add_co_ci_u32_e64 v46, s13, 0, v57, s13
	s_delay_alu instid0(VALU_DEP_1) | instskip(NEXT) | instid1(VALU_DEP_1)
	v_sub_nc_u32_e32 v57, 0, v46
	v_cndmask_b32_e32 v46, v46, v57, vcc_lo
	v_cmp_lt_i32_e32 vcc_lo, -1, v13
	v_sub_nc_u16 v13, 0, v45
	s_delay_alu instid0(VALU_DEP_1) | instskip(NEXT) | instid1(VALU_DEP_1)
	v_dual_cndmask_b32 v13, v13, v45 :: v_dual_and_b32 v46, 0xff, v46
	v_and_b32_e32 v13, 0xff, v13
	s_delay_alu instid0(VALU_DEP_1) | instskip(NEXT) | instid1(VALU_DEP_1)
	v_mul_hi_u32 v45, v13, s16
	v_mul_lo_u32 v57, s47, v45
	s_delay_alu instid0(VALU_DEP_1) | instskip(NEXT) | instid1(VALU_DEP_1)
	v_sub_nc_u32_e32 v13, v13, v57
	v_cmp_le_u32_e64 s13, s47, v13
	s_delay_alu instid0(VALU_DEP_1) | instskip(NEXT) | instid1(VALU_DEP_1)
	v_add_co_ci_u32_e64 v13, s13, 0, v45, s13
	v_sub_nc_u32_e32 v45, 0, v13
	s_delay_alu instid0(VALU_DEP_1) | instskip(SKIP_2) | instid1(VALU_DEP_3)
	v_cndmask_b32_e32 v13, v45, v13, vcc_lo
	v_lshlrev_b32_e32 v45, 16, v46
	v_perm_b32 v46, v56, v47, 0xc0c0500
	v_lshlrev_b32_e32 v13, 24, v13
	s_delay_alu instid0(VALU_DEP_1) | instskip(SKIP_1) | instid1(VALU_DEP_1)
	v_or3_b32 v13, v13, v45, v46
	v_bfe_i32 v45, v44, 0, 8
	v_cmp_gt_i16_e32 vcc_lo, 0, v45
	v_sub_nc_u16 v45, 0, v44
	s_and_b32 vcc_lo, s17, vcc_lo
	s_waitcnt vmcnt(0)
	s_delay_alu instid0(VALU_DEP_1) | instskip(SKIP_1) | instid1(VALU_DEP_2)
	v_dual_cndmask_b32 v45, v44, v45 :: v_dual_and_b32 v162, 0xff00ff, v76
	v_lshrrev_b32_e32 v44, 16, v44
	v_and_b32_e32 v45, 0xff, v45
	s_delay_alu instid0(VALU_DEP_1) | instskip(NEXT) | instid1(VALU_DEP_1)
	v_mul_hi_u32 v46, v45, s16
	v_mul_lo_u32 v47, s47, v46
	s_delay_alu instid0(VALU_DEP_1) | instskip(SKIP_2) | instid1(VALU_DEP_3)
	v_sub_nc_u32_e32 v45, v45, v47
	v_and_b32_e32 v47, 0x8000, v14
	v_and_b32_e32 v14, s48, v14
	v_cmp_le_u32_e64 s13, s47, v45
	s_delay_alu instid0(VALU_DEP_1) | instskip(NEXT) | instid1(VALU_DEP_1)
	v_add_co_ci_u32_e64 v45, s13, 0, v46, s13
	v_sub_nc_u32_e32 v46, 0, v45
	s_delay_alu instid0(VALU_DEP_1) | instskip(SKIP_3) | instid1(VALU_DEP_3)
	v_cndmask_b32_e32 v45, v45, v46, vcc_lo
	v_lshrrev_b32_e32 v46, 8, v43
	v_cmp_ne_u32_e32 vcc_lo, 0, v47
	v_lshrrev_b32_e32 v43, 24, v43
	v_sub_nc_u16 v47, 0, v46
	s_and_b32 vcc_lo, s17, vcc_lo
	s_delay_alu instid0(VALU_DEP_1) | instskip(NEXT) | instid1(VALU_DEP_1)
	v_cndmask_b32_e32 v46, v46, v47, vcc_lo
	v_and_b32_e32 v46, 0xff, v46
	s_delay_alu instid0(VALU_DEP_1) | instskip(NEXT) | instid1(VALU_DEP_1)
	v_mul_hi_u32 v47, v46, s16
	v_mul_lo_u32 v56, s47, v47
	s_delay_alu instid0(VALU_DEP_1) | instskip(NEXT) | instid1(VALU_DEP_1)
	v_sub_nc_u32_e32 v46, v46, v56
	v_cmp_le_u32_e64 s13, s47, v46
	s_delay_alu instid0(VALU_DEP_1) | instskip(NEXT) | instid1(VALU_DEP_1)
	v_add_co_ci_u32_e64 v46, s13, 0, v47, s13
	v_sub_nc_u32_e32 v47, 0, v46
	s_delay_alu instid0(VALU_DEP_1) | instskip(SKIP_1) | instid1(VALU_DEP_2)
	v_cndmask_b32_e32 v46, v46, v47, vcc_lo
	v_bfe_i32 v47, v44, 0, 8
	v_lshlrev_b32_e32 v46, 8, v46
	s_delay_alu instid0(VALU_DEP_2) | instskip(SKIP_2) | instid1(VALU_DEP_1)
	v_cmp_gt_i16_e32 vcc_lo, 0, v47
	v_sub_nc_u16 v47, 0, v44
	s_and_b32 vcc_lo, s17, vcc_lo
	v_cndmask_b32_e32 v44, v44, v47, vcc_lo
	s_delay_alu instid0(VALU_DEP_1) | instskip(NEXT) | instid1(VALU_DEP_1)
	v_and_b32_e32 v44, 0xff, v44
	v_mul_hi_u32 v47, v44, s16
	s_delay_alu instid0(VALU_DEP_1) | instskip(NEXT) | instid1(VALU_DEP_1)
	v_mul_lo_u32 v56, s47, v47
	v_sub_nc_u32_e32 v44, v44, v56
	s_delay_alu instid0(VALU_DEP_1) | instskip(NEXT) | instid1(VALU_DEP_1)
	v_cmp_le_u32_e64 s13, s47, v44
	v_add_co_ci_u32_e64 v44, s13, 0, v47, s13
	s_delay_alu instid0(VALU_DEP_1) | instskip(NEXT) | instid1(VALU_DEP_1)
	v_sub_nc_u32_e32 v47, 0, v44
	v_cndmask_b32_e32 v44, v44, v47, vcc_lo
	v_cmp_lt_i32_e32 vcc_lo, -1, v14
	v_sub_nc_u16 v14, 0, v43
	s_delay_alu instid0(VALU_DEP_3) | instskip(NEXT) | instid1(VALU_DEP_2)
	v_and_b32_e32 v44, 0xff, v44
	v_cndmask_b32_e32 v14, v14, v43, vcc_lo
	v_perm_b32 v17, v181, v182, 0x7020500
	s_delay_alu instid0(VALU_DEP_2) | instskip(NEXT) | instid1(VALU_DEP_1)
	v_and_b32_e32 v14, 0xff, v14
	v_mul_hi_u32 v43, v14, s16
	s_delay_alu instid0(VALU_DEP_1) | instskip(NEXT) | instid1(VALU_DEP_1)
	v_mul_lo_u32 v47, s47, v43
	v_sub_nc_u32_e32 v14, v14, v47
	s_delay_alu instid0(VALU_DEP_1) | instskip(NEXT) | instid1(VALU_DEP_1)
	v_cmp_le_u32_e64 s13, s47, v14
	v_add_co_ci_u32_e64 v14, s13, 0, v43, s13
	s_delay_alu instid0(VALU_DEP_1) | instskip(NEXT) | instid1(VALU_DEP_1)
	v_sub_nc_u32_e32 v43, 0, v14
	v_dual_cndmask_b32 v14, v43, v14 :: v_dual_lshlrev_b32 v43, 16, v44
	v_perm_b32 v44, v46, v45, 0xc0c0500
	s_delay_alu instid0(VALU_DEP_2) | instskip(NEXT) | instid1(VALU_DEP_1)
	v_lshlrev_b32_e32 v14, 24, v14
	v_or3_b32 v14, v14, v43, v44
	v_bfe_i32 v43, v41, 0, 8
	s_delay_alu instid0(VALU_DEP_1) | instskip(SKIP_2) | instid1(VALU_DEP_1)
	v_cmp_gt_i16_e32 vcc_lo, 0, v43
	v_sub_nc_u16 v43, 0, v41
	s_and_b32 vcc_lo, s17, vcc_lo
	v_cndmask_b32_e32 v43, v41, v43, vcc_lo
	v_lshrrev_b32_e32 v41, 16, v41
	s_delay_alu instid0(VALU_DEP_2) | instskip(NEXT) | instid1(VALU_DEP_1)
	v_and_b32_e32 v43, 0xff, v43
	v_mul_hi_u32 v44, v43, s16
	s_delay_alu instid0(VALU_DEP_1) | instskip(NEXT) | instid1(VALU_DEP_1)
	v_mul_lo_u32 v45, s47, v44
	v_sub_nc_u32_e32 v43, v43, v45
	v_and_b32_e32 v45, 0x8000, v15
	v_and_b32_e32 v15, s48, v15
	s_delay_alu instid0(VALU_DEP_3) | instskip(NEXT) | instid1(VALU_DEP_1)
	v_cmp_le_u32_e64 s13, s47, v43
	v_add_co_ci_u32_e64 v43, s13, 0, v44, s13
	s_delay_alu instid0(VALU_DEP_1) | instskip(NEXT) | instid1(VALU_DEP_1)
	v_sub_nc_u32_e32 v44, 0, v43
	v_cndmask_b32_e32 v43, v43, v44, vcc_lo
	v_lshrrev_b32_e32 v44, 8, v42
	v_cmp_ne_u32_e32 vcc_lo, 0, v45
	v_lshrrev_b32_e32 v42, 24, v42
	s_delay_alu instid0(VALU_DEP_3) | instskip(SKIP_1) | instid1(VALU_DEP_1)
	v_sub_nc_u16 v45, 0, v44
	s_and_b32 vcc_lo, s17, vcc_lo
	v_cndmask_b32_e32 v44, v44, v45, vcc_lo
	s_delay_alu instid0(VALU_DEP_1) | instskip(NEXT) | instid1(VALU_DEP_1)
	v_and_b32_e32 v44, 0xff, v44
	v_mul_hi_u32 v45, v44, s16
	s_delay_alu instid0(VALU_DEP_1) | instskip(NEXT) | instid1(VALU_DEP_1)
	v_mul_lo_u32 v46, s47, v45
	v_sub_nc_u32_e32 v44, v44, v46
	s_delay_alu instid0(VALU_DEP_1) | instskip(NEXT) | instid1(VALU_DEP_1)
	v_cmp_le_u32_e64 s13, s47, v44
	v_add_co_ci_u32_e64 v44, s13, 0, v45, s13
	s_delay_alu instid0(VALU_DEP_1) | instskip(NEXT) | instid1(VALU_DEP_1)
	v_sub_nc_u32_e32 v45, 0, v44
	v_cndmask_b32_e32 v44, v44, v45, vcc_lo
	v_bfe_i32 v45, v41, 0, 8
	s_delay_alu instid0(VALU_DEP_2) | instskip(NEXT) | instid1(VALU_DEP_2)
	v_lshlrev_b32_e32 v44, 8, v44
	v_cmp_gt_i16_e32 vcc_lo, 0, v45
	v_sub_nc_u16 v45, 0, v41
	s_and_b32 vcc_lo, s17, vcc_lo
	s_delay_alu instid0(VALU_DEP_1) | instskip(NEXT) | instid1(VALU_DEP_1)
	v_cndmask_b32_e32 v41, v41, v45, vcc_lo
	v_and_b32_e32 v41, 0xff, v41
	s_delay_alu instid0(VALU_DEP_1) | instskip(NEXT) | instid1(VALU_DEP_1)
	v_mul_hi_u32 v45, v41, s16
	v_mul_lo_u32 v46, s47, v45
	s_delay_alu instid0(VALU_DEP_1) | instskip(NEXT) | instid1(VALU_DEP_1)
	v_sub_nc_u32_e32 v41, v41, v46
	v_cmp_le_u32_e64 s13, s47, v41
	s_delay_alu instid0(VALU_DEP_1) | instskip(NEXT) | instid1(VALU_DEP_1)
	v_add_co_ci_u32_e64 v41, s13, 0, v45, s13
	v_sub_nc_u32_e32 v45, 0, v41
	s_delay_alu instid0(VALU_DEP_1) | instskip(SKIP_2) | instid1(VALU_DEP_3)
	v_cndmask_b32_e32 v41, v41, v45, vcc_lo
	v_cmp_lt_i32_e32 vcc_lo, -1, v15
	v_sub_nc_u16 v15, 0, v42
	v_and_b32_e32 v41, 0xff, v41
	s_delay_alu instid0(VALU_DEP_2) | instskip(NEXT) | instid1(VALU_DEP_2)
	v_cndmask_b32_e32 v15, v15, v42, vcc_lo
	v_lshlrev_b32_e32 v41, 16, v41
	s_delay_alu instid0(VALU_DEP_2) | instskip(NEXT) | instid1(VALU_DEP_1)
	v_and_b32_e32 v15, 0xff, v15
	v_mul_hi_u32 v42, v15, s16
	s_delay_alu instid0(VALU_DEP_1) | instskip(NEXT) | instid1(VALU_DEP_1)
	v_mul_lo_u32 v45, s47, v42
	v_sub_nc_u32_e32 v15, v15, v45
	s_delay_alu instid0(VALU_DEP_1) | instskip(NEXT) | instid1(VALU_DEP_1)
	v_cmp_le_u32_e64 s13, s47, v15
	v_add_co_ci_u32_e64 v15, s13, 0, v42, s13
	s_delay_alu instid0(VALU_DEP_1) | instskip(NEXT) | instid1(VALU_DEP_1)
	v_sub_nc_u32_e32 v42, 0, v15
	v_cndmask_b32_e32 v15, v42, v15, vcc_lo
	v_perm_b32 v42, v44, v43, 0xc0c0500
	s_delay_alu instid0(VALU_DEP_2) | instskip(NEXT) | instid1(VALU_DEP_1)
	v_lshlrev_b32_e32 v15, 24, v15
	v_or3_b32 v15, v15, v41, v42
	v_bfe_i32 v41, v40, 0, 8
	s_delay_alu instid0(VALU_DEP_1) | instskip(SKIP_2) | instid1(VALU_DEP_1)
	v_cmp_gt_i16_e32 vcc_lo, 0, v41
	v_sub_nc_u16 v41, 0, v40
	s_and_b32 vcc_lo, s17, vcc_lo
	v_cndmask_b32_e32 v41, v40, v41, vcc_lo
	v_lshrrev_b32_e32 v40, 16, v40
	s_delay_alu instid0(VALU_DEP_2) | instskip(NEXT) | instid1(VALU_DEP_1)
	v_and_b32_e32 v41, 0xff, v41
	v_mul_hi_u32 v42, v41, s16
	s_delay_alu instid0(VALU_DEP_1) | instskip(NEXT) | instid1(VALU_DEP_1)
	v_mul_lo_u32 v43, s47, v42
	v_sub_nc_u32_e32 v41, v41, v43
	v_and_b32_e32 v43, 0x8000, v183
	v_and_b32_e32 v183, s48, v183
	s_delay_alu instid0(VALU_DEP_3) | instskip(NEXT) | instid1(VALU_DEP_1)
	v_cmp_le_u32_e64 s13, s47, v41
	v_add_co_ci_u32_e64 v41, s13, 0, v42, s13
	s_delay_alu instid0(VALU_DEP_1) | instskip(NEXT) | instid1(VALU_DEP_1)
	v_sub_nc_u32_e32 v42, 0, v41
	v_cndmask_b32_e32 v41, v41, v42, vcc_lo
	v_lshrrev_b32_e32 v42, 8, v16
	v_cmp_ne_u32_e32 vcc_lo, 0, v43
	v_lshrrev_b32_e32 v16, 24, v16
	s_delay_alu instid0(VALU_DEP_3) | instskip(SKIP_1) | instid1(VALU_DEP_1)
	v_sub_nc_u16 v43, 0, v42
	s_and_b32 vcc_lo, s17, vcc_lo
	v_cndmask_b32_e32 v42, v42, v43, vcc_lo
	v_perm_b32 v18, v179, v180, 0x7020500
	s_delay_alu instid0(VALU_DEP_2) | instskip(NEXT) | instid1(VALU_DEP_1)
	v_and_b32_e32 v42, 0xff, v42
	v_mul_hi_u32 v43, v42, s16
	s_delay_alu instid0(VALU_DEP_1) | instskip(NEXT) | instid1(VALU_DEP_1)
	v_mul_lo_u32 v44, s47, v43
	v_sub_nc_u32_e32 v42, v42, v44
	s_delay_alu instid0(VALU_DEP_1) | instskip(NEXT) | instid1(VALU_DEP_1)
	v_cmp_le_u32_e64 s13, s47, v42
	v_add_co_ci_u32_e64 v42, s13, 0, v43, s13
	s_delay_alu instid0(VALU_DEP_1) | instskip(NEXT) | instid1(VALU_DEP_1)
	v_sub_nc_u32_e32 v43, 0, v42
	v_cndmask_b32_e32 v42, v42, v43, vcc_lo
	v_bfe_i32 v43, v40, 0, 8
	s_delay_alu instid0(VALU_DEP_2) | instskip(NEXT) | instid1(VALU_DEP_2)
	v_lshlrev_b32_e32 v42, 8, v42
	v_cmp_gt_i16_e32 vcc_lo, 0, v43
	v_sub_nc_u16 v43, 0, v40
	s_and_b32 vcc_lo, s17, vcc_lo
	s_delay_alu instid0(VALU_DEP_1) | instskip(NEXT) | instid1(VALU_DEP_1)
	v_cndmask_b32_e32 v40, v40, v43, vcc_lo
	v_and_b32_e32 v40, 0xff, v40
	s_delay_alu instid0(VALU_DEP_1) | instskip(NEXT) | instid1(VALU_DEP_1)
	v_mul_hi_u32 v43, v40, s16
	v_mul_lo_u32 v44, s47, v43
	s_delay_alu instid0(VALU_DEP_1) | instskip(NEXT) | instid1(VALU_DEP_1)
	v_sub_nc_u32_e32 v40, v40, v44
	v_cmp_le_u32_e64 s13, s47, v40
	s_delay_alu instid0(VALU_DEP_1) | instskip(NEXT) | instid1(VALU_DEP_1)
	v_add_co_ci_u32_e64 v40, s13, 0, v43, s13
	v_sub_nc_u32_e32 v43, 0, v40
	s_delay_alu instid0(VALU_DEP_1) | instskip(SKIP_3) | instid1(VALU_DEP_4)
	v_cndmask_b32_e32 v40, v40, v43, vcc_lo
	v_cmp_lt_i32_e32 vcc_lo, -1, v183
	v_sub_nc_u16 v183, 0, v16
	v_and_b32_e32 v19, 0xff00ff00, v19
	v_and_b32_e32 v40, 0xff, v40
	s_delay_alu instid0(VALU_DEP_3) | instskip(NEXT) | instid1(VALU_DEP_1)
	v_cndmask_b32_e32 v16, v183, v16, vcc_lo
	v_and_b32_e32 v16, 0xff, v16
	s_delay_alu instid0(VALU_DEP_1) | instskip(NEXT) | instid1(VALU_DEP_1)
	v_mul_hi_u32 v183, v16, s16
	v_mul_lo_u32 v43, s47, v183
	s_delay_alu instid0(VALU_DEP_1) | instskip(NEXT) | instid1(VALU_DEP_1)
	v_sub_nc_u32_e32 v16, v16, v43
	v_cmp_le_u32_e64 s13, s47, v16
	s_delay_alu instid0(VALU_DEP_1) | instskip(NEXT) | instid1(VALU_DEP_1)
	v_add_co_ci_u32_e64 v16, s13, 0, v183, s13
	v_sub_nc_u32_e32 v183, 0, v16
	s_delay_alu instid0(VALU_DEP_1) | instskip(SKIP_2) | instid1(VALU_DEP_3)
	v_cndmask_b32_e32 v16, v183, v16, vcc_lo
	v_lshlrev_b32_e32 v183, 16, v40
	v_perm_b32 v40, v42, v41, 0xc0c0500
	v_lshlrev_b32_e32 v16, 24, v16
	s_delay_alu instid0(VALU_DEP_1) | instskip(SKIP_1) | instid1(VALU_DEP_1)
	v_or3_b32 v16, v16, v183, v40
	v_bfe_i32 v183, v182, 0, 8
	v_cmp_gt_i16_e64 vcc_lo, 0, v183
	v_sub_nc_u16 v183, 0, v182
	s_delay_alu instid0(VALU_DEP_2) | instskip(NEXT) | instid1(VALU_DEP_1)
	s_and_b32 vcc_lo, s17, vcc_lo
	v_cndmask_b32_e32 v183, v182, v183, vcc_lo
	v_lshrrev_b32_e32 v182, 16, v182
	s_delay_alu instid0(VALU_DEP_2) | instskip(NEXT) | instid1(VALU_DEP_1)
	v_and_b32_e32 v183, 0xff, v183
	v_mul_hi_u32 v40, v183, s16
	s_delay_alu instid0(VALU_DEP_1) | instskip(NEXT) | instid1(VALU_DEP_1)
	v_mul_lo_u32 v41, s47, v40
	v_sub_nc_u32_e32 v183, v183, v41
	v_and_b32_e32 v41, 0x8000, v17
	v_and_b32_e32 v17, s48, v17
	s_delay_alu instid0(VALU_DEP_3) | instskip(NEXT) | instid1(VALU_DEP_1)
	v_cmp_le_u32_e64 s13, s47, v183
	v_add_co_ci_u32_e64 v183, s13, 0, v40, s13
	s_delay_alu instid0(VALU_DEP_1) | instskip(NEXT) | instid1(VALU_DEP_1)
	v_sub_nc_u32_e32 v40, 0, v183
	v_dual_cndmask_b32 v183, v183, v40 :: v_dual_add_nc_u32 v178, v161, v19
	v_lshrrev_b32_e32 v40, 8, v181
	v_cmp_ne_u32_e32 vcc_lo, 0, v41
	v_lshrrev_b32_e32 v181, 24, v181
	s_delay_alu instid0(VALU_DEP_4) | instskip(NEXT) | instid1(VALU_DEP_4)
	v_perm_b32 v19, v178, v177, 0x7020500
	v_sub_nc_u16 v41, 0, v40
	s_and_b32 vcc_lo, s17, vcc_lo
	s_delay_alu instid0(VALU_DEP_1) | instskip(NEXT) | instid1(VALU_DEP_1)
	v_dual_cndmask_b32 v40, v40, v41 :: v_dual_and_b32 v161, 0xff00ff, v20
	v_add_co_u32 v176, null, v162, v161
	s_delay_alu instid0(VALU_DEP_2) | instskip(NEXT) | instid1(VALU_DEP_1)
	v_and_b32_e32 v40, 0xff, v40
	v_mul_hi_u32 v41, v40, s16
	s_delay_alu instid0(VALU_DEP_1) | instskip(NEXT) | instid1(VALU_DEP_1)
	v_mul_lo_u32 v42, s47, v41
	v_sub_nc_u32_e32 v40, v40, v42
	s_delay_alu instid0(VALU_DEP_1) | instskip(NEXT) | instid1(VALU_DEP_1)
	v_cmp_le_u32_e64 s13, s47, v40
	v_add_co_ci_u32_e64 v40, s13, 0, v41, s13
	s_delay_alu instid0(VALU_DEP_1) | instskip(NEXT) | instid1(VALU_DEP_1)
	v_sub_nc_u32_e32 v41, 0, v40
	v_dual_cndmask_b32 v40, v40, v41 :: v_dual_and_b32 v161, 0xff00ff00, v76
	v_bfe_i32 v41, v182, 0, 8
	s_delay_alu instid0(VALU_DEP_2) | instskip(NEXT) | instid1(VALU_DEP_2)
	v_lshlrev_b32_e32 v40, 8, v40
	v_cmp_gt_i16_e32 vcc_lo, 0, v41
	v_sub_nc_u16 v41, 0, v182
	s_and_b32 vcc_lo, s17, vcc_lo
	s_delay_alu instid0(VALU_DEP_1) | instskip(NEXT) | instid1(VALU_DEP_1)
	v_cndmask_b32_e32 v182, v182, v41, vcc_lo
	v_and_b32_e32 v182, 0xff, v182
	s_delay_alu instid0(VALU_DEP_1) | instskip(NEXT) | instid1(VALU_DEP_1)
	v_mul_hi_u32 v41, v182, s16
	v_mul_lo_u32 v42, s47, v41
	s_delay_alu instid0(VALU_DEP_1) | instskip(NEXT) | instid1(VALU_DEP_1)
	v_sub_nc_u32_e32 v182, v182, v42
	v_cmp_le_u32_e64 s13, s47, v182
	s_delay_alu instid0(VALU_DEP_1) | instskip(NEXT) | instid1(VALU_DEP_1)
	v_add_co_ci_u32_e64 v182, s13, 0, v41, s13
	v_sub_nc_u32_e32 v41, 0, v182
	s_delay_alu instid0(VALU_DEP_1) | instskip(SKIP_3) | instid1(VALU_DEP_2)
	v_cndmask_b32_e32 v182, v182, v41, vcc_lo
	v_cmp_lt_i32_e32 vcc_lo, -1, v17
	v_sub_nc_u16 v17, 0, v181
	v_and_b32_e32 v20, 0xff00ff00, v20
	v_dual_cndmask_b32 v17, v17, v181 :: v_dual_and_b32 v182, 0xff, v182
	s_delay_alu instid0(VALU_DEP_1) | instskip(NEXT) | instid1(VALU_DEP_1)
	v_and_b32_e32 v17, 0xff, v17
	v_mul_hi_u32 v181, v17, s16
	s_delay_alu instid0(VALU_DEP_1) | instskip(NEXT) | instid1(VALU_DEP_1)
	v_mul_lo_u32 v41, s47, v181
	v_sub_nc_u32_e32 v17, v17, v41
	s_delay_alu instid0(VALU_DEP_1) | instskip(NEXT) | instid1(VALU_DEP_1)
	v_cmp_le_u32_e64 s13, s47, v17
	v_add_co_ci_u32_e64 v17, s13, 0, v181, s13
	s_delay_alu instid0(VALU_DEP_1) | instskip(NEXT) | instid1(VALU_DEP_1)
	v_sub_nc_u32_e32 v181, 0, v17
	v_cndmask_b32_e32 v17, v181, v17, vcc_lo
	v_lshlrev_b32_e32 v181, 16, v182
	v_perm_b32 v182, v40, v183, 0xc0c0500
	s_delay_alu instid0(VALU_DEP_3) | instskip(NEXT) | instid1(VALU_DEP_1)
	v_lshlrev_b32_e32 v17, 24, v17
	v_or3_b32 v17, v17, v181, v182
	v_bfe_i32 v181, v180, 0, 8
	s_delay_alu instid0(VALU_DEP_1) | instskip(SKIP_1) | instid1(VALU_DEP_2)
	v_cmp_gt_i16_e64 vcc_lo, 0, v181
	v_sub_nc_u16 v181, 0, v180
	s_and_b32 vcc_lo, s17, vcc_lo
	s_delay_alu instid0(VALU_DEP_1) | instskip(SKIP_1) | instid1(VALU_DEP_2)
	v_dual_cndmask_b32 v181, v180, v181 :: v_dual_add_nc_u32 v20, v161, v20
	v_lshrrev_b32_e32 v180, 16, v180
	v_perm_b32 v167, v20, v176, 0x7020500
	s_delay_alu instid0(VALU_DEP_3) | instskip(NEXT) | instid1(VALU_DEP_1)
	v_and_b32_e32 v181, 0xff, v181
	v_mul_hi_u32 v182, v181, s16
	s_delay_alu instid0(VALU_DEP_1) | instskip(NEXT) | instid1(VALU_DEP_1)
	v_mul_lo_u32 v183, s47, v182
	v_sub_nc_u32_e32 v181, v181, v183
	v_and_b32_e32 v183, 0x8000, v18
	v_and_b32_e32 v18, s48, v18
	s_delay_alu instid0(VALU_DEP_3) | instskip(NEXT) | instid1(VALU_DEP_1)
	v_cmp_le_u32_e64 s13, s47, v181
	v_add_co_ci_u32_e64 v181, s13, 0, v182, s13
	s_delay_alu instid0(VALU_DEP_1) | instskip(NEXT) | instid1(VALU_DEP_1)
	v_sub_nc_u32_e32 v182, 0, v181
	v_dual_cndmask_b32 v181, v181, v182 :: v_dual_and_b32 v162, 0xff00ff, v77
	v_lshrrev_b32_e32 v182, 8, v179
	v_cmp_ne_u32_e32 vcc_lo, 0, v183
	v_lshrrev_b32_e32 v179, 24, v179
	s_delay_alu instid0(VALU_DEP_3) | instskip(SKIP_1) | instid1(VALU_DEP_1)
	v_sub_nc_u16 v183, 0, v182
	s_and_b32 vcc_lo, s17, vcc_lo
	v_dual_cndmask_b32 v182, v182, v183 :: v_dual_and_b32 v161, 0xff00ff, v21
	s_delay_alu instid0(VALU_DEP_1) | instskip(NEXT) | instid1(VALU_DEP_2)
	v_add_co_u32 v166, null, v162, v161
	v_and_b32_e32 v182, 0xff, v182
	s_delay_alu instid0(VALU_DEP_1) | instskip(NEXT) | instid1(VALU_DEP_1)
	v_mul_hi_u32 v183, v182, s16
	v_mul_lo_u32 v40, s47, v183
	s_delay_alu instid0(VALU_DEP_1) | instskip(NEXT) | instid1(VALU_DEP_1)
	v_sub_nc_u32_e32 v182, v182, v40
	v_cmp_le_u32_e64 s13, s47, v182
	s_delay_alu instid0(VALU_DEP_1) | instskip(NEXT) | instid1(VALU_DEP_1)
	v_add_co_ci_u32_e64 v182, s13, 0, v183, s13
	v_sub_nc_u32_e32 v183, 0, v182
	s_delay_alu instid0(VALU_DEP_1) | instskip(SKIP_1) | instid1(VALU_DEP_2)
	v_dual_cndmask_b32 v182, v182, v183 :: v_dual_and_b32 v21, 0xff00ff00, v21
	v_bfe_i32 v183, v180, 0, 8
	v_lshlrev_b32_e32 v182, 8, v182
	s_delay_alu instid0(VALU_DEP_2) | instskip(SKIP_1) | instid1(VALU_DEP_2)
	v_cmp_gt_i16_e64 vcc_lo, 0, v183
	v_sub_nc_u16 v183, 0, v180
	s_and_b32 vcc_lo, s17, vcc_lo
	s_delay_alu instid0(VALU_DEP_1) | instskip(NEXT) | instid1(VALU_DEP_1)
	v_dual_cndmask_b32 v180, v180, v183 :: v_dual_and_b32 v161, 0xff00ff00, v77
	v_and_b32_e32 v180, 0xff, v180
	s_delay_alu instid0(VALU_DEP_1) | instskip(NEXT) | instid1(VALU_DEP_1)
	v_mul_hi_u32 v183, v180, s16
	v_mul_lo_u32 v40, s47, v183
	s_delay_alu instid0(VALU_DEP_1) | instskip(NEXT) | instid1(VALU_DEP_1)
	v_sub_nc_u32_e32 v180, v180, v40
	v_cmp_le_u32_e64 s13, s47, v180
	s_delay_alu instid0(VALU_DEP_1) | instskip(NEXT) | instid1(VALU_DEP_1)
	v_add_co_ci_u32_e64 v180, s13, 0, v183, s13
	v_sub_nc_u32_e32 v183, 0, v180
	s_delay_alu instid0(VALU_DEP_1) | instskip(SKIP_3) | instid1(VALU_DEP_4)
	v_dual_cndmask_b32 v180, v180, v183 :: v_dual_add_nc_u32 v165, v161, v21
	v_cmp_lt_i32_e32 vcc_lo, -1, v18
	v_sub_nc_u16 v18, 0, v179
	v_and_b32_e32 v161, 0xff00ff, v22
	v_perm_b32 v21, v165, v166, 0x7020500
	v_and_b32_e32 v180, 0xff, v180
	s_delay_alu instid0(VALU_DEP_4) | instskip(NEXT) | instid1(VALU_DEP_1)
	v_cndmask_b32_e32 v18, v18, v179, vcc_lo
	v_and_b32_e32 v18, 0xff, v18
	s_delay_alu instid0(VALU_DEP_1) | instskip(NEXT) | instid1(VALU_DEP_1)
	v_mul_hi_u32 v179, v18, s16
	v_mul_lo_u32 v183, s47, v179
	s_delay_alu instid0(VALU_DEP_1) | instskip(NEXT) | instid1(VALU_DEP_1)
	v_sub_nc_u32_e32 v18, v18, v183
	v_cmp_le_u32_e64 s13, s47, v18
	s_delay_alu instid0(VALU_DEP_1) | instskip(NEXT) | instid1(VALU_DEP_1)
	v_add_co_ci_u32_e64 v18, s13, 0, v179, s13
	v_sub_nc_u32_e32 v179, 0, v18
	s_delay_alu instid0(VALU_DEP_1) | instskip(SKIP_1) | instid1(VALU_DEP_2)
	v_dual_cndmask_b32 v18, v179, v18 :: v_dual_lshlrev_b32 v179, 16, v180
	v_perm_b32 v180, v182, v181, 0xc0c0500
	v_lshlrev_b32_e32 v18, 24, v18
	s_delay_alu instid0(VALU_DEP_1) | instskip(SKIP_1) | instid1(VALU_DEP_1)
	v_or3_b32 v18, v18, v179, v180
	v_bfe_i32 v179, v177, 0, 8
	v_cmp_gt_i16_e64 vcc_lo, 0, v179
	v_sub_nc_u16 v179, 0, v177
	s_delay_alu instid0(VALU_DEP_2) | instskip(NEXT) | instid1(VALU_DEP_1)
	s_and_b32 vcc_lo, s17, vcc_lo
	v_dual_cndmask_b32 v179, v177, v179 :: v_dual_and_b32 v162, 0xff00ff, v78
	v_lshrrev_b32_e32 v177, 16, v177
	s_delay_alu instid0(VALU_DEP_2) | instskip(NEXT) | instid1(VALU_DEP_3)
	v_add_co_u32 v164, null, v162, v161
	v_and_b32_e32 v179, 0xff, v179
	s_delay_alu instid0(VALU_DEP_1) | instskip(NEXT) | instid1(VALU_DEP_1)
	v_mul_hi_u32 v180, v179, s16
	v_mul_lo_u32 v181, s47, v180
	s_delay_alu instid0(VALU_DEP_1) | instskip(SKIP_2) | instid1(VALU_DEP_3)
	v_sub_nc_u32_e32 v179, v179, v181
	v_and_b32_e32 v181, 0x8000, v19
	v_and_b32_e32 v19, s48, v19
	v_cmp_le_u32_e64 s13, s47, v179
	s_delay_alu instid0(VALU_DEP_1) | instskip(NEXT) | instid1(VALU_DEP_1)
	v_add_co_ci_u32_e64 v179, s13, 0, v180, s13
	v_sub_nc_u32_e32 v180, 0, v179
	s_delay_alu instid0(VALU_DEP_1) | instskip(SKIP_3) | instid1(VALU_DEP_3)
	v_dual_cndmask_b32 v179, v179, v180 :: v_dual_and_b32 v22, 0xff00ff00, v22
	v_lshrrev_b32_e32 v180, 8, v178
	v_cmp_ne_u32_e32 vcc_lo, 0, v181
	v_lshrrev_b32_e32 v178, 24, v178
	v_sub_nc_u16 v181, 0, v180
	s_and_b32 vcc_lo, s17, vcc_lo
	s_delay_alu instid0(VALU_DEP_1) | instskip(NEXT) | instid1(VALU_DEP_1)
	v_dual_cndmask_b32 v180, v180, v181 :: v_dual_and_b32 v161, 0xff00ff00, v78
	v_and_b32_e32 v180, 0xff, v180
	s_delay_alu instid0(VALU_DEP_1) | instskip(NEXT) | instid1(VALU_DEP_1)
	v_mul_hi_u32 v181, v180, s16
	v_mul_lo_u32 v182, s47, v181
	s_delay_alu instid0(VALU_DEP_1) | instskip(NEXT) | instid1(VALU_DEP_1)
	v_sub_nc_u32_e32 v180, v180, v182
	v_cmp_le_u32_e64 s13, s47, v180
	s_delay_alu instid0(VALU_DEP_1) | instskip(NEXT) | instid1(VALU_DEP_1)
	v_add_co_ci_u32_e64 v180, s13, 0, v181, s13
	v_sub_nc_u32_e32 v181, 0, v180
	s_delay_alu instid0(VALU_DEP_1) | instskip(SKIP_1) | instid1(VALU_DEP_2)
	v_dual_cndmask_b32 v180, v180, v181 :: v_dual_add_nc_u32 v163, v161, v22
	v_bfe_i32 v181, v177, 0, 8
	v_perm_b32 v22, v163, v164, 0x7020500
	s_delay_alu instid0(VALU_DEP_3) | instskip(NEXT) | instid1(VALU_DEP_3)
	v_lshlrev_b32_e32 v180, 8, v180
	v_cmp_gt_i16_e64 vcc_lo, 0, v181
	v_sub_nc_u16 v181, 0, v177
	s_delay_alu instid0(VALU_DEP_2) | instskip(NEXT) | instid1(VALU_DEP_1)
	s_and_b32 vcc_lo, s17, vcc_lo
	v_dual_cndmask_b32 v177, v177, v181 :: v_dual_and_b32 v162, 0xff00ff, v79
	s_delay_alu instid0(VALU_DEP_1) | instskip(NEXT) | instid1(VALU_DEP_1)
	v_and_b32_e32 v177, 0xff, v177
	v_mul_hi_u32 v181, v177, s16
	s_delay_alu instid0(VALU_DEP_1) | instskip(NEXT) | instid1(VALU_DEP_1)
	v_mul_lo_u32 v182, s47, v181
	v_sub_nc_u32_e32 v177, v177, v182
	s_delay_alu instid0(VALU_DEP_1) | instskip(NEXT) | instid1(VALU_DEP_1)
	v_cmp_le_u32_e64 s13, s47, v177
	v_add_co_ci_u32_e64 v177, s13, 0, v181, s13
	s_delay_alu instid0(VALU_DEP_1) | instskip(NEXT) | instid1(VALU_DEP_1)
	v_sub_nc_u32_e32 v181, 0, v177
	v_cndmask_b32_e32 v177, v177, v181, vcc_lo
	v_cmp_lt_i32_e32 vcc_lo, -1, v19
	v_sub_nc_u16 v19, 0, v178
	s_delay_alu instid0(VALU_DEP_3) | instskip(NEXT) | instid1(VALU_DEP_2)
	v_and_b32_e32 v177, 0xff, v177
	v_cndmask_b32_e32 v19, v19, v178, vcc_lo
	s_delay_alu instid0(VALU_DEP_2) | instskip(NEXT) | instid1(VALU_DEP_2)
	v_lshlrev_b32_e32 v177, 16, v177
	v_and_b32_e32 v19, 0xff, v19
	s_delay_alu instid0(VALU_DEP_1) | instskip(NEXT) | instid1(VALU_DEP_1)
	v_mul_hi_u32 v178, v19, s16
	v_mul_lo_u32 v181, s47, v178
	s_delay_alu instid0(VALU_DEP_1) | instskip(NEXT) | instid1(VALU_DEP_1)
	v_sub_nc_u32_e32 v19, v19, v181
	v_cmp_le_u32_e64 s13, s47, v19
	s_delay_alu instid0(VALU_DEP_1) | instskip(NEXT) | instid1(VALU_DEP_1)
	v_add_co_ci_u32_e64 v19, s13, 0, v178, s13
	v_sub_nc_u32_e32 v178, 0, v19
	s_delay_alu instid0(VALU_DEP_1) | instskip(SKIP_1) | instid1(VALU_DEP_2)
	v_cndmask_b32_e32 v19, v178, v19, vcc_lo
	v_perm_b32 v178, v180, v179, 0xc0c0500
	v_lshlrev_b32_e32 v19, 24, v19
	s_delay_alu instid0(VALU_DEP_1) | instskip(SKIP_1) | instid1(VALU_DEP_1)
	v_or3_b32 v19, v19, v177, v178
	v_bfe_i32 v177, v176, 0, 8
	v_cmp_gt_i16_e64 vcc_lo, 0, v177
	v_sub_nc_u16 v177, 0, v176
	s_delay_alu instid0(VALU_DEP_2) | instskip(NEXT) | instid1(VALU_DEP_1)
	s_and_b32 vcc_lo, s17, vcc_lo
	v_cndmask_b32_e32 v177, v176, v177, vcc_lo
	v_lshrrev_b32_e32 v176, 16, v176
	s_delay_alu instid0(VALU_DEP_2) | instskip(NEXT) | instid1(VALU_DEP_1)
	v_and_b32_e32 v177, 0xff, v177
	v_mul_hi_u32 v178, v177, s16
	s_delay_alu instid0(VALU_DEP_1) | instskip(NEXT) | instid1(VALU_DEP_1)
	v_mul_lo_u32 v179, s47, v178
	v_sub_nc_u32_e32 v177, v177, v179
	v_and_b32_e32 v179, 0x8000, v167
	v_and_b32_e32 v167, s48, v167
	s_delay_alu instid0(VALU_DEP_3) | instskip(NEXT) | instid1(VALU_DEP_1)
	v_cmp_le_u32_e64 s13, s47, v177
	v_add_co_ci_u32_e64 v177, s13, 0, v178, s13
	s_delay_alu instid0(VALU_DEP_1) | instskip(NEXT) | instid1(VALU_DEP_1)
	v_sub_nc_u32_e32 v178, 0, v177
	v_cndmask_b32_e32 v177, v177, v178, vcc_lo
	v_lshrrev_b32_e32 v178, 8, v20
	v_cmp_ne_u32_e32 vcc_lo, 0, v179
	v_lshrrev_b32_e32 v20, 24, v20
	s_delay_alu instid0(VALU_DEP_3) | instskip(SKIP_1) | instid1(VALU_DEP_1)
	v_sub_nc_u16 v179, 0, v178
	s_and_b32 vcc_lo, s17, vcc_lo
	v_cndmask_b32_e32 v178, v178, v179, vcc_lo
	s_delay_alu instid0(VALU_DEP_1) | instskip(NEXT) | instid1(VALU_DEP_1)
	v_and_b32_e32 v178, 0xff, v178
	v_mul_hi_u32 v179, v178, s16
	s_delay_alu instid0(VALU_DEP_1) | instskip(NEXT) | instid1(VALU_DEP_1)
	v_mul_lo_u32 v180, s47, v179
	v_sub_nc_u32_e32 v178, v178, v180
	s_delay_alu instid0(VALU_DEP_1) | instskip(NEXT) | instid1(VALU_DEP_1)
	v_cmp_le_u32_e64 s13, s47, v178
	v_add_co_ci_u32_e64 v178, s13, 0, v179, s13
	s_delay_alu instid0(VALU_DEP_1) | instskip(NEXT) | instid1(VALU_DEP_1)
	v_sub_nc_u32_e32 v179, 0, v178
	v_cndmask_b32_e32 v178, v178, v179, vcc_lo
	v_bfe_i32 v179, v176, 0, 8
	s_delay_alu instid0(VALU_DEP_2) | instskip(NEXT) | instid1(VALU_DEP_2)
	v_lshlrev_b32_e32 v178, 8, v178
	v_cmp_gt_i16_e64 vcc_lo, 0, v179
	v_sub_nc_u16 v179, 0, v176
	s_delay_alu instid0(VALU_DEP_2) | instskip(NEXT) | instid1(VALU_DEP_1)
	s_and_b32 vcc_lo, s17, vcc_lo
	v_cndmask_b32_e32 v176, v176, v179, vcc_lo
	s_delay_alu instid0(VALU_DEP_1) | instskip(NEXT) | instid1(VALU_DEP_1)
	v_and_b32_e32 v176, 0xff, v176
	v_mul_hi_u32 v179, v176, s16
	s_delay_alu instid0(VALU_DEP_1) | instskip(NEXT) | instid1(VALU_DEP_1)
	v_mul_lo_u32 v180, s47, v179
	v_sub_nc_u32_e32 v176, v176, v180
	s_delay_alu instid0(VALU_DEP_1) | instskip(NEXT) | instid1(VALU_DEP_1)
	v_cmp_le_u32_e64 s13, s47, v176
	v_add_co_ci_u32_e64 v176, s13, 0, v179, s13
	s_delay_alu instid0(VALU_DEP_1) | instskip(NEXT) | instid1(VALU_DEP_1)
	v_sub_nc_u32_e32 v179, 0, v176
	v_cndmask_b32_e32 v176, v176, v179, vcc_lo
	v_cmp_lt_i32_e32 vcc_lo, -1, v167
	v_sub_nc_u16 v167, 0, v20
	v_and_b32_e32 v161, 0xff00ff, v23
	s_delay_alu instid0(VALU_DEP_4) | instskip(NEXT) | instid1(VALU_DEP_3)
	v_and_b32_e32 v176, 0xff, v176
	v_cndmask_b32_e32 v20, v167, v20, vcc_lo
	s_delay_alu instid0(VALU_DEP_3) | instskip(NEXT) | instid1(VALU_DEP_2)
	v_add_co_u32 v161, null, v162, v161
	v_and_b32_e32 v20, 0xff, v20
	s_delay_alu instid0(VALU_DEP_1) | instskip(NEXT) | instid1(VALU_DEP_1)
	v_mul_hi_u32 v167, v20, s16
	v_mul_lo_u32 v179, s47, v167
	s_delay_alu instid0(VALU_DEP_1) | instskip(NEXT) | instid1(VALU_DEP_1)
	v_sub_nc_u32_e32 v20, v20, v179
	v_cmp_le_u32_e64 s13, s47, v20
	s_delay_alu instid0(VALU_DEP_1) | instskip(NEXT) | instid1(VALU_DEP_1)
	v_add_co_ci_u32_e64 v20, s13, 0, v167, s13
	v_sub_nc_u32_e32 v167, 0, v20
	s_delay_alu instid0(VALU_DEP_1) | instskip(SKIP_2) | instid1(VALU_DEP_3)
	v_dual_cndmask_b32 v20, v167, v20 :: v_dual_and_b32 v23, 0xff00ff00, v23
	v_lshlrev_b32_e32 v167, 16, v176
	v_perm_b32 v176, v178, v177, 0xc0c0500
	v_lshlrev_b32_e32 v20, 24, v20
	s_delay_alu instid0(VALU_DEP_1) | instskip(SKIP_1) | instid1(VALU_DEP_1)
	v_or3_b32 v20, v20, v167, v176
	v_bfe_i32 v167, v166, 0, 8
	v_cmp_gt_i16_e64 vcc_lo, 0, v167
	v_sub_nc_u16 v167, 0, v166
	s_delay_alu instid0(VALU_DEP_2) | instskip(NEXT) | instid1(VALU_DEP_1)
	s_and_b32 vcc_lo, s17, vcc_lo
	v_cndmask_b32_e32 v167, v166, v167, vcc_lo
	v_lshrrev_b32_e32 v166, 16, v166
	s_delay_alu instid0(VALU_DEP_2) | instskip(NEXT) | instid1(VALU_DEP_1)
	v_and_b32_e32 v167, 0xff, v167
	v_mul_hi_u32 v176, v167, s16
	s_delay_alu instid0(VALU_DEP_1) | instskip(NEXT) | instid1(VALU_DEP_1)
	v_mul_lo_u32 v177, s47, v176
	v_sub_nc_u32_e32 v167, v167, v177
	v_and_b32_e32 v177, 0x8000, v21
	v_and_b32_e32 v21, s48, v21
	s_delay_alu instid0(VALU_DEP_3) | instskip(NEXT) | instid1(VALU_DEP_1)
	v_cmp_le_u32_e64 s13, s47, v167
	v_add_co_ci_u32_e64 v167, s13, 0, v176, s13
	s_delay_alu instid0(VALU_DEP_1) | instskip(NEXT) | instid1(VALU_DEP_1)
	v_sub_nc_u32_e32 v176, 0, v167
	v_dual_cndmask_b32 v167, v167, v176 :: v_dual_and_b32 v162, 0xff00ff00, v79
	v_lshrrev_b32_e32 v176, 8, v165
	v_cmp_ne_u32_e32 vcc_lo, 0, v177
	v_lshrrev_b32_e32 v165, 24, v165
	s_delay_alu instid0(VALU_DEP_3) | instskip(SKIP_1) | instid1(VALU_DEP_1)
	v_sub_nc_u16 v177, 0, v176
	s_and_b32 vcc_lo, s17, vcc_lo
	v_cndmask_b32_e32 v176, v176, v177, vcc_lo
	s_delay_alu instid0(VALU_DEP_1) | instskip(NEXT) | instid1(VALU_DEP_1)
	v_and_b32_e32 v176, 0xff, v176
	v_mul_hi_u32 v177, v176, s16
	s_delay_alu instid0(VALU_DEP_1) | instskip(NEXT) | instid1(VALU_DEP_1)
	v_mul_lo_u32 v178, s47, v177
	v_sub_nc_u32_e32 v176, v176, v178
	s_delay_alu instid0(VALU_DEP_1) | instskip(NEXT) | instid1(VALU_DEP_1)
	v_cmp_le_u32_e64 s13, s47, v176
	v_add_co_ci_u32_e64 v176, s13, 0, v177, s13
	s_delay_alu instid0(VALU_DEP_1) | instskip(NEXT) | instid1(VALU_DEP_1)
	v_sub_nc_u32_e32 v177, 0, v176
	v_cndmask_b32_e32 v176, v176, v177, vcc_lo
	v_bfe_i32 v177, v166, 0, 8
	s_delay_alu instid0(VALU_DEP_2) | instskip(NEXT) | instid1(VALU_DEP_2)
	v_lshlrev_b32_e32 v176, 8, v176
	v_cmp_gt_i16_e64 vcc_lo, 0, v177
	v_sub_nc_u16 v177, 0, v166
	s_delay_alu instid0(VALU_DEP_2) | instskip(NEXT) | instid1(VALU_DEP_1)
	s_and_b32 vcc_lo, s17, vcc_lo
	v_cndmask_b32_e32 v166, v166, v177, vcc_lo
	s_delay_alu instid0(VALU_DEP_1) | instskip(NEXT) | instid1(VALU_DEP_1)
	v_and_b32_e32 v166, 0xff, v166
	v_mul_hi_u32 v177, v166, s16
	s_delay_alu instid0(VALU_DEP_1) | instskip(NEXT) | instid1(VALU_DEP_1)
	v_mul_lo_u32 v178, s47, v177
	v_sub_nc_u32_e32 v166, v166, v178
	s_delay_alu instid0(VALU_DEP_1) | instskip(NEXT) | instid1(VALU_DEP_1)
	v_cmp_le_u32_e64 s13, s47, v166
	v_add_co_ci_u32_e64 v166, s13, 0, v177, s13
	s_delay_alu instid0(VALU_DEP_1) | instskip(NEXT) | instid1(VALU_DEP_1)
	v_sub_nc_u32_e32 v177, 0, v166
	v_cndmask_b32_e32 v166, v166, v177, vcc_lo
	v_cmp_lt_i32_e32 vcc_lo, -1, v21
	v_sub_nc_u16 v21, 0, v165
	v_add_nc_u32_e32 v162, v162, v23
	s_delay_alu instid0(VALU_DEP_2) | instskip(NEXT) | instid1(VALU_DEP_2)
	v_dual_cndmask_b32 v21, v21, v165 :: v_dual_and_b32 v166, 0xff, v166
	v_perm_b32 v23, v162, v161, 0x7020500
	s_delay_alu instid0(VALU_DEP_2) | instskip(NEXT) | instid1(VALU_DEP_1)
	v_and_b32_e32 v21, 0xff, v21
	v_mul_hi_u32 v165, v21, s16
	s_delay_alu instid0(VALU_DEP_1) | instskip(NEXT) | instid1(VALU_DEP_1)
	v_mul_lo_u32 v177, s47, v165
	v_sub_nc_u32_e32 v21, v21, v177
	s_delay_alu instid0(VALU_DEP_1) | instskip(NEXT) | instid1(VALU_DEP_1)
	v_cmp_le_u32_e64 s13, s47, v21
	v_add_co_ci_u32_e64 v21, s13, 0, v165, s13
	s_delay_alu instid0(VALU_DEP_1) | instskip(NEXT) | instid1(VALU_DEP_1)
	v_sub_nc_u32_e32 v165, 0, v21
	v_cndmask_b32_e32 v21, v165, v21, vcc_lo
	v_lshlrev_b32_e32 v165, 16, v166
	v_perm_b32 v166, v176, v167, 0xc0c0500
	s_delay_alu instid0(VALU_DEP_3) | instskip(NEXT) | instid1(VALU_DEP_1)
	v_lshlrev_b32_e32 v21, 24, v21
	v_or3_b32 v21, v21, v165, v166
	v_bfe_i32 v165, v164, 0, 8
	s_delay_alu instid0(VALU_DEP_1) | instskip(SKIP_1) | instid1(VALU_DEP_2)
	v_cmp_gt_i16_e64 vcc_lo, 0, v165
	v_sub_nc_u16 v165, 0, v164
	s_and_b32 vcc_lo, s17, vcc_lo
	s_delay_alu instid0(VALU_DEP_1) | instskip(SKIP_1) | instid1(VALU_DEP_2)
	v_cndmask_b32_e32 v165, v164, v165, vcc_lo
	v_lshrrev_b32_e32 v164, 16, v164
	v_and_b32_e32 v165, 0xff, v165
	s_delay_alu instid0(VALU_DEP_1) | instskip(NEXT) | instid1(VALU_DEP_1)
	v_mul_hi_u32 v166, v165, s16
	v_mul_lo_u32 v167, s47, v166
	s_delay_alu instid0(VALU_DEP_1) | instskip(SKIP_2) | instid1(VALU_DEP_3)
	v_sub_nc_u32_e32 v165, v165, v167
	v_and_b32_e32 v167, 0x8000, v22
	v_and_b32_e32 v22, s48, v22
	v_cmp_le_u32_e64 s13, s47, v165
	s_delay_alu instid0(VALU_DEP_1) | instskip(NEXT) | instid1(VALU_DEP_1)
	v_add_co_ci_u32_e64 v165, s13, 0, v166, s13
	v_sub_nc_u32_e32 v166, 0, v165
	s_delay_alu instid0(VALU_DEP_1) | instskip(SKIP_3) | instid1(VALU_DEP_3)
	v_cndmask_b32_e32 v165, v165, v166, vcc_lo
	v_lshrrev_b32_e32 v166, 8, v163
	v_cmp_ne_u32_e32 vcc_lo, 0, v167
	v_lshrrev_b32_e32 v163, 24, v163
	v_sub_nc_u16 v167, 0, v166
	s_and_b32 vcc_lo, s17, vcc_lo
	s_delay_alu instid0(VALU_DEP_1) | instskip(NEXT) | instid1(VALU_DEP_1)
	v_cndmask_b32_e32 v166, v166, v167, vcc_lo
	v_and_b32_e32 v166, 0xff, v166
	s_delay_alu instid0(VALU_DEP_1) | instskip(NEXT) | instid1(VALU_DEP_1)
	v_mul_hi_u32 v167, v166, s16
	v_mul_lo_u32 v176, s47, v167
	s_delay_alu instid0(VALU_DEP_1) | instskip(NEXT) | instid1(VALU_DEP_1)
	v_sub_nc_u32_e32 v166, v166, v176
	v_cmp_le_u32_e64 s13, s47, v166
	s_delay_alu instid0(VALU_DEP_1) | instskip(NEXT) | instid1(VALU_DEP_1)
	v_add_co_ci_u32_e64 v166, s13, 0, v167, s13
	v_sub_nc_u32_e32 v167, 0, v166
	s_delay_alu instid0(VALU_DEP_1) | instskip(SKIP_1) | instid1(VALU_DEP_2)
	v_cndmask_b32_e32 v166, v166, v167, vcc_lo
	v_bfe_i32 v167, v164, 0, 8
	v_lshlrev_b32_e32 v166, 8, v166
	s_delay_alu instid0(VALU_DEP_2) | instskip(SKIP_1) | instid1(VALU_DEP_2)
	v_cmp_gt_i16_e64 vcc_lo, 0, v167
	v_sub_nc_u16 v167, 0, v164
	s_and_b32 vcc_lo, s17, vcc_lo
	s_delay_alu instid0(VALU_DEP_1) | instskip(NEXT) | instid1(VALU_DEP_1)
	v_cndmask_b32_e32 v164, v164, v167, vcc_lo
	v_and_b32_e32 v164, 0xff, v164
	s_delay_alu instid0(VALU_DEP_1) | instskip(NEXT) | instid1(VALU_DEP_1)
	v_mul_hi_u32 v167, v164, s16
	v_mul_lo_u32 v176, s47, v167
	s_delay_alu instid0(VALU_DEP_1) | instskip(NEXT) | instid1(VALU_DEP_1)
	v_sub_nc_u32_e32 v164, v164, v176
	v_cmp_le_u32_e64 s13, s47, v164
	s_delay_alu instid0(VALU_DEP_1) | instskip(NEXT) | instid1(VALU_DEP_1)
	v_add_co_ci_u32_e64 v164, s13, 0, v167, s13
	v_sub_nc_u32_e32 v167, 0, v164
	s_delay_alu instid0(VALU_DEP_1) | instskip(SKIP_2) | instid1(VALU_DEP_3)
	v_cndmask_b32_e32 v164, v164, v167, vcc_lo
	v_cmp_lt_i32_e32 vcc_lo, -1, v22
	v_sub_nc_u16 v22, 0, v163
	v_and_b32_e32 v164, 0xff, v164
	s_delay_alu instid0(VALU_DEP_2) | instskip(NEXT) | instid1(VALU_DEP_1)
	v_cndmask_b32_e32 v22, v22, v163, vcc_lo
	v_and_b32_e32 v22, 0xff, v22
	s_delay_alu instid0(VALU_DEP_1) | instskip(NEXT) | instid1(VALU_DEP_1)
	v_mul_hi_u32 v163, v22, s16
	v_mul_lo_u32 v167, s47, v163
	s_delay_alu instid0(VALU_DEP_1) | instskip(NEXT) | instid1(VALU_DEP_1)
	v_sub_nc_u32_e32 v22, v22, v167
	v_cmp_le_u32_e64 s13, s47, v22
	s_delay_alu instid0(VALU_DEP_1) | instskip(NEXT) | instid1(VALU_DEP_1)
	v_add_co_ci_u32_e64 v22, s13, 0, v163, s13
	v_sub_nc_u32_e32 v163, 0, v22
	s_delay_alu instid0(VALU_DEP_1) | instskip(SKIP_1) | instid1(VALU_DEP_2)
	v_dual_cndmask_b32 v22, v163, v22 :: v_dual_lshlrev_b32 v163, 16, v164
	v_perm_b32 v164, v166, v165, 0xc0c0500
	v_lshlrev_b32_e32 v22, 24, v22
	s_delay_alu instid0(VALU_DEP_1) | instskip(SKIP_1) | instid1(VALU_DEP_1)
	v_or3_b32 v22, v22, v163, v164
	v_bfe_i32 v163, v161, 0, 8
	v_cmp_gt_i16_e64 vcc_lo, 0, v163
	v_sub_nc_u16 v163, 0, v161
	s_delay_alu instid0(VALU_DEP_2) | instskip(NEXT) | instid1(VALU_DEP_1)
	s_and_b32 vcc_lo, s17, vcc_lo
	v_cndmask_b32_e32 v163, v161, v163, vcc_lo
	v_lshrrev_b32_e32 v161, 16, v161
	s_delay_alu instid0(VALU_DEP_2) | instskip(NEXT) | instid1(VALU_DEP_1)
	v_and_b32_e32 v163, 0xff, v163
	v_mul_hi_u32 v164, v163, s16
	s_delay_alu instid0(VALU_DEP_1) | instskip(NEXT) | instid1(VALU_DEP_1)
	v_mul_lo_u32 v165, s47, v164
	v_sub_nc_u32_e32 v163, v163, v165
	v_and_b32_e32 v165, 0x8000, v23
	v_and_b32_e32 v23, s48, v23
	s_delay_alu instid0(VALU_DEP_3) | instskip(NEXT) | instid1(VALU_DEP_1)
	v_cmp_le_u32_e64 s13, s47, v163
	v_add_co_ci_u32_e64 v163, s13, 0, v164, s13
	s_delay_alu instid0(VALU_DEP_1) | instskip(NEXT) | instid1(VALU_DEP_1)
	v_sub_nc_u32_e32 v164, 0, v163
	v_cndmask_b32_e32 v163, v163, v164, vcc_lo
	v_lshrrev_b32_e32 v164, 8, v162
	v_cmp_ne_u32_e32 vcc_lo, 0, v165
	v_lshrrev_b32_e32 v162, 24, v162
	s_delay_alu instid0(VALU_DEP_3) | instskip(SKIP_1) | instid1(VALU_DEP_1)
	v_sub_nc_u16 v165, 0, v164
	s_and_b32 vcc_lo, s17, vcc_lo
	v_cndmask_b32_e32 v164, v164, v165, vcc_lo
	s_delay_alu instid0(VALU_DEP_1) | instskip(NEXT) | instid1(VALU_DEP_1)
	v_and_b32_e32 v164, 0xff, v164
	v_mul_hi_u32 v165, v164, s16
	s_delay_alu instid0(VALU_DEP_1) | instskip(NEXT) | instid1(VALU_DEP_1)
	v_mul_lo_u32 v166, s47, v165
	v_sub_nc_u32_e32 v164, v164, v166
	s_delay_alu instid0(VALU_DEP_1) | instskip(NEXT) | instid1(VALU_DEP_1)
	v_cmp_le_u32_e64 s13, s47, v164
	v_add_co_ci_u32_e64 v164, s13, 0, v165, s13
	s_delay_alu instid0(VALU_DEP_1) | instskip(NEXT) | instid1(VALU_DEP_1)
	v_sub_nc_u32_e32 v165, 0, v164
	v_cndmask_b32_e32 v164, v164, v165, vcc_lo
	v_bfe_i32 v165, v161, 0, 8
	s_delay_alu instid0(VALU_DEP_2) | instskip(NEXT) | instid1(VALU_DEP_2)
	v_lshlrev_b32_e32 v164, 8, v164
	v_cmp_gt_i16_e64 vcc_lo, 0, v165
	v_sub_nc_u16 v165, 0, v161
	s_delay_alu instid0(VALU_DEP_2) | instskip(NEXT) | instid1(VALU_DEP_1)
	s_and_b32 vcc_lo, s17, vcc_lo
	v_cndmask_b32_e32 v161, v161, v165, vcc_lo
	s_delay_alu instid0(VALU_DEP_1) | instskip(NEXT) | instid1(VALU_DEP_1)
	v_and_b32_e32 v161, 0xff, v161
	v_mul_hi_u32 v165, v161, s16
	s_delay_alu instid0(VALU_DEP_1) | instskip(NEXT) | instid1(VALU_DEP_1)
	v_mul_lo_u32 v166, s47, v165
	v_sub_nc_u32_e32 v161, v161, v166
	s_delay_alu instid0(VALU_DEP_1) | instskip(NEXT) | instid1(VALU_DEP_1)
	v_cmp_le_u32_e64 s13, s47, v161
	v_add_co_ci_u32_e64 v161, s13, 0, v165, s13
	s_delay_alu instid0(VALU_DEP_1) | instskip(NEXT) | instid1(VALU_DEP_1)
	v_sub_nc_u32_e32 v165, 0, v161
	v_cndmask_b32_e32 v161, v161, v165, vcc_lo
	v_cmp_lt_i32_e32 vcc_lo, -1, v23
	v_sub_nc_u16 v23, 0, v162
	s_delay_alu instid0(VALU_DEP_3) | instskip(NEXT) | instid1(VALU_DEP_2)
	v_and_b32_e32 v161, 0xff, v161
	v_cndmask_b32_e32 v23, v23, v162, vcc_lo
	s_delay_alu instid0(VALU_DEP_2) | instskip(NEXT) | instid1(VALU_DEP_2)
	v_lshlrev_b32_e32 v161, 16, v161
	v_and_b32_e32 v23, 0xff, v23
	s_delay_alu instid0(VALU_DEP_1) | instskip(NEXT) | instid1(VALU_DEP_1)
	v_mul_hi_u32 v162, v23, s16
	v_mul_lo_u32 v165, s47, v162
	s_delay_alu instid0(VALU_DEP_1) | instskip(NEXT) | instid1(VALU_DEP_1)
	v_sub_nc_u32_e32 v23, v23, v165
	v_cmp_le_u32_e64 s13, s47, v23
	s_delay_alu instid0(VALU_DEP_1) | instskip(NEXT) | instid1(VALU_DEP_1)
	v_add_co_ci_u32_e64 v23, s13, 0, v162, s13
	v_sub_nc_u32_e32 v162, 0, v23
	s_delay_alu instid0(VALU_DEP_1) | instskip(SKIP_3) | instid1(VALU_DEP_4)
	v_cndmask_b32_e32 v23, v162, v23, vcc_lo
	v_perm_b32 v162, v164, v163, 0xc0c0500
	v_add_co_u32 v70, vcc_lo, v70, v134
	v_add_co_ci_u32_e32 v71, vcc_lo, v71, v135, vcc_lo
	v_lshlrev_b32_e32 v23, 24, v23
	v_add_co_u32 v80, vcc_lo, v80, v134
	v_add_co_ci_u32_e32 v81, vcc_lo, v81, v135, vcc_lo
	s_delay_alu instid0(VALU_DEP_3)
	v_or3_b32 v23, v23, v161, v162
	s_clause 0x3
	global_store_b128 v[82:83], v[8:11], off glc slc dlc
	global_store_b128 v[82:83], v[12:15], off offset:512 glc slc dlc
	global_store_b128 v[82:83], v[16:19], off offset:1024 glc slc dlc
	;; [unrolled: 1-line block ×3, first 2 shown]
	s_clause 0x3
	global_store_b128 v[84:85], v[8:11], off glc slc dlc
	global_store_b128 v[84:85], v[12:15], off offset:512 glc slc dlc
	global_store_b128 v[84:85], v[16:19], off offset:1024 glc slc dlc
	;; [unrolled: 1-line block ×3, first 2 shown]
	v_add_co_u32 v82, vcc_lo, v82, v134
	v_add_co_ci_u32_e32 v83, vcc_lo, v83, v135, vcc_lo
	v_add_co_u32 v84, vcc_lo, v84, v134
	v_add_co_ci_u32_e32 v85, vcc_lo, v85, v135, vcc_lo
	v_cmp_gt_i32_e32 vcc_lo, 1, v2
	s_or_b32 s15, vcc_lo, s15
	s_delay_alu instid0(SALU_CYCLE_1)
	s_and_not1_b32 exec_lo, exec_lo, s15
	s_cbranch_execnz .LBB6_651
; %bb.652:                              ;   in Loop: Header=BB6_558 Depth=2
	s_or_b32 exec_lo, exec_lo, s15
.LBB6_653:                              ;   in Loop: Header=BB6_558 Depth=2
	s_delay_alu instid0(SALU_CYCLE_1) | instskip(SKIP_2) | instid1(VALU_DEP_1)
	s_or_b32 exec_lo, exec_lo, s14
	v_lshlrev_b32_e32 v20, 11, v160
	s_mov_b32 s30, exec_lo
                                        ; implicit-def: $vgpr17
                                        ; implicit-def: $vgpr16
                                        ; implicit-def: $vgpr18
                                        ; implicit-def: $vgpr8
	v_cmpx_ne_u32_e64 v151, v20
	s_cbranch_execz .LBB6_664
; %bb.654:                              ;   in Loop: Header=BB6_558 Depth=2
	v_lshlrev_b32_e32 v2, 5, v2
	v_sub_nc_u32_e32 v9, v151, v20
	s_mov_b32 s31, exec_lo
	s_delay_alu instid0(VALU_DEP_2) | instskip(NEXT) | instid1(VALU_DEP_2)
	v_sub_nc_u32_e32 v2, v99, v2
	v_ashrrev_i32_e32 v10, 31, v9
	s_delay_alu instid0(VALU_DEP_2) | instskip(NEXT) | instid1(VALU_DEP_2)
	v_ashrrev_i32_e32 v8, 31, v2
	v_lshrrev_b32_e32 v10, 23, v10
	s_delay_alu instid0(VALU_DEP_2) | instskip(NEXT) | instid1(VALU_DEP_2)
	v_lshrrev_b32_e32 v8, 27, v8
	v_add_nc_u32_e32 v10, v9, v10
	s_delay_alu instid0(VALU_DEP_2) | instskip(NEXT) | instid1(VALU_DEP_1)
	v_add_nc_u32_e32 v8, v2, v8
	v_and_b32_e32 v11, 0xffffffe0, v8
	s_delay_alu instid0(VALU_DEP_1) | instskip(NEXT) | instid1(VALU_DEP_4)
	v_sub_nc_u32_e32 v21, v2, v11
	v_and_b32_e32 v2, 0xfffffe00, v10
	v_ashrrev_i32_e32 v11, 5, v8
	v_ashrrev_i32_e32 v10, 9, v10
	s_delay_alu instid0(VALU_DEP_4) | instskip(NEXT) | instid1(VALU_DEP_4)
	v_lshlrev_b32_e32 v8, 4, v21
	v_sub_nc_u32_e32 v22, v9, v2
	s_delay_alu instid0(VALU_DEP_2) | instskip(NEXT) | instid1(VALU_DEP_2)
	v_lshl_add_u32 v8, v11, 9, v8
	v_cmp_lt_i32_e64 s13, 15, v22
	s_delay_alu instid0(VALU_DEP_2) | instskip(NEXT) | instid1(VALU_DEP_2)
	v_sub_nc_u32_e32 v70, v9, v8
	v_add_co_ci_u32_e64 v10, vcc_lo, 0, v10, s13
	s_delay_alu instid0(VALU_DEP_1) | instskip(NEXT) | instid1(VALU_DEP_3)
	v_sub_nc_u32_e32 v23, v10, v11
	v_cmpx_lt_i32_e32 15, v70
	s_cbranch_execz .LBB6_661
; %bb.655:                              ;   in Loop: Header=BB6_558 Depth=2
	v_cvt_f32_u32_e32 v9, s47
	s_sub_i32 s15, 0, s47
	s_mov_b32 s34, 0
	s_delay_alu instid0(VALU_DEP_1) | instskip(SKIP_2) | instid1(VALU_DEP_1)
	v_rcp_iflag_f32_e32 v9, v9
	s_waitcnt_depctr 0xfff
	v_mul_f32_e32 v9, 0x4f7ffffe, v9
	v_cvt_u32_f32_e32 v9, v9
	s_delay_alu instid0(VALU_DEP_1) | instskip(NEXT) | instid1(VALU_DEP_1)
	v_readfirstlane_b32 s14, v9
	s_mul_i32 s15, s15, s14
	s_delay_alu instid0(SALU_CYCLE_1) | instskip(NEXT) | instid1(SALU_CYCLE_1)
	s_mul_hi_u32 s15, s14, s15
	s_add_i32 s14, s14, s15
	s_delay_alu instid0(SALU_CYCLE_1) | instskip(NEXT) | instid1(SALU_CYCLE_1)
	s_mul_hi_u32 s14, s14, -1
	s_mul_i32 s15, s14, s47
	s_add_i32 s16, s14, 1
	s_not_b32 s15, s15
	s_delay_alu instid0(SALU_CYCLE_1)
	s_sub_i32 s17, s15, s47
	s_cmp_ge_u32 s15, s47
	s_cselect_b32 s14, s16, s14
	s_cselect_b32 s15, s17, s15
	s_add_i32 s16, s14, 1
	s_cmp_ge_u32 s15, s47
	s_cselect_b32 s35, s16, s14
	s_cbranch_execnz .LBB6_1808
; %bb.656:                              ;   in Loop: Header=BB6_558 Depth=2
	ds_load_b128 v[12:15], v0
	v_add_nc_u32_e32 v8, v8, v20
	s_cmp_lt_i32 s48, 0
	s_cselect_b32 s36, -1, 0
	s_delay_alu instid0(VALU_DEP_1) | instskip(SKIP_2) | instid1(VALU_DEP_2)
	v_ashrrev_i32_e32 v9, 31, v8
	s_waitcnt lgkmcnt(0)
	v_add_co_u32 v12, vcc_lo, v12, v8
	v_add_co_ci_u32_e32 v13, vcc_lo, v13, v9, vcc_lo
	s_delay_alu instid0(VALU_DEP_1) | instskip(SKIP_2) | instid1(VALU_DEP_1)
	v_mov_b32_e32 v17, v13
	v_add_co_u32 v14, vcc_lo, v14, v8
	v_add_co_ci_u32_e32 v15, vcc_lo, v15, v9, vcc_lo
	v_dual_mov_b32 v16, v12 :: v_dual_mov_b32 v19, v15
	s_delay_alu instid0(VALU_DEP_3)
	v_mov_b32_e32 v18, v14
.LBB6_657:                              ;   Parent Loop BB6_51 Depth=1
                                        ;     Parent Loop BB6_558 Depth=2
                                        ; =>    This Loop Header: Depth=3
                                        ;         Child Loop BB6_658 Depth 4
	global_load_b128 v[8:11], v[16:17], off slc dlc
	global_load_b128 v[80:83], v[18:19], off slc dlc
	s_waitcnt vmcnt(1)
	v_and_b32_e32 v71, 0xff00ff, v8
	s_waitcnt vmcnt(0)
	v_and_b32_e32 v84, 0xff00ff, v80
	v_and_b32_e32 v85, 0xff00ff, v9
	;; [unrolled: 1-line block ×7, first 2 shown]
	v_add_co_u32 v71, null, v84, v71
	s_delay_alu instid0(VALU_DEP_4) | instskip(SKIP_1) | instid1(VALU_DEP_4)
	v_add_nc_u32_e32 v9, v81, v9
	v_and_b32_e32 v80, 0xff00ff00, v80
	v_add_co_u32 v81, null, v162, v161
	s_delay_alu instid0(VALU_DEP_4)
	v_bfe_i32 v161, v71, 0, 8
	v_and_b32_e32 v163, 0xff00ff, v11
	v_and_b32_e32 v164, 0xff00ff, v83
	;; [unrolled: 1-line block ×4, first 2 shown]
	v_cmp_gt_i16_e64 vcc_lo, 0, v161
	v_and_b32_e32 v10, 0xff00ff00, v10
	v_and_b32_e32 v82, 0xff00ff00, v82
	v_sub_nc_u16 v162, 0, v71
	v_add_nc_u32_e32 v11, v83, v11
	s_and_b32 vcc_lo, s36, vcc_lo
	v_and_b32_e32 v8, 0xff00ff00, v8
	v_add_nc_u32_e32 v10, v82, v10
	v_add_co_u32 v82, null, v164, v163
	v_lshrrev_b32_e32 v164, 16, v71
	s_delay_alu instid0(VALU_DEP_4) | instskip(SKIP_3) | instid1(VALU_DEP_4)
	v_add_nc_u32_e32 v8, v80, v8
	v_add_co_u32 v80, null, v160, v85
	v_perm_b32 v85, v10, v81, 0x7020500
	v_lshrrev_b32_e32 v167, 8, v9
	v_perm_b32 v83, v8, v71, 0x7020500
	v_lshrrev_b32_e32 v163, 8, v8
	v_lshrrev_b32_e32 v8, 24, v8
	v_perm_b32 v84, v9, v80, 0x7020500
	v_bfe_i32 v165, v80, 0, 8
	v_and_b32_e32 v161, 0x8000, v83
	v_and_b32_e32 v83, s48, v83
	v_cndmask_b32_e32 v71, v71, v162, vcc_lo
	v_sub_nc_u16 v44, 0, v8
	v_cmp_gt_i16_e64 s14, 0, v165
	v_and_b32_e32 v165, 0x8000, v84
	v_cmp_lt_i32_e64 s19, -1, v83
	v_and_b32_e32 v71, 0xff, v71
	v_sub_nc_u16 v166, 0, v80
	v_lshrrev_b32_e32 v9, 24, v9
	v_bfe_i32 v177, v81, 0, 8
	v_cndmask_b32_e64 v8, v44, v8, s19
	v_and_b32_e32 v84, s48, v84
	s_and_b32 s14, s36, s14
	v_cmp_ne_u32_e64 s20, 0, v165
	v_mul_hi_u32 v165, v71, s35
	v_lshrrev_b32_e32 v176, 16, v80
	v_and_b32_e32 v8, 0xff, v8
	v_cndmask_b32_e64 v80, v80, v166, s14
	v_sub_nc_u16 v45, 0, v167
	v_sub_nc_u16 v56, 0, v9
	v_cmp_gt_i16_e64 s15, 0, v177
	v_and_b32_e32 v177, 0x8000, v85
	v_and_b32_e32 v85, s48, v85
	v_cmp_lt_i32_e64 s22, -1, v84
	v_bfe_i32 v46, v176, 0, 8
	s_and_b32 s20, s36, s20
	v_mul_hi_u32 v166, v8, s35
	v_and_b32_e32 v80, 0xff, v80
	v_perm_b32 v160, v11, v82, 0x7020500
	v_bfe_i32 v181, v82, 0, 8
	v_cndmask_b32_e64 v9, v56, v9, s22
	v_cmp_lt_i32_e64 s25, -1, v85
	v_cndmask_b32_e64 v85, v167, v45, s20
	v_mul_lo_u32 v45, s47, v165
	v_sub_nc_u16 v178, 0, v81
	v_lshrrev_b32_e32 v179, 8, v10
	v_lshrrev_b32_e32 v10, 24, v10
	v_cmp_gt_i16_e64 s21, 0, v46
	s_and_b32 s15, s36, s15
	v_mul_hi_u32 v167, v80, s35
	v_sub_nc_u16 v47, 0, v176
	v_cmp_gt_i16_e64 s16, 0, v181
	v_and_b32_e32 v181, 0x8000, v160
	v_and_b32_e32 v160, s48, v160
	v_and_b32_e32 v9, 0xff, v9
	v_lshrrev_b32_e32 v180, 16, v81
	v_cndmask_b32_e64 v81, v81, v178, s15
	v_mul_lo_u32 v46, s47, v166
	v_sub_nc_u16 v60, 0, v10
	s_and_b32 s21, s36, s21
	v_sub_nc_u32_e32 v71, v71, v45
	v_cmp_lt_i32_e64 s28, -1, v160
	v_cndmask_b32_e64 v160, v176, v47, s21
	v_mul_hi_u32 v176, v9, s35
	v_and_b32_e32 v81, 0xff, v81
	v_cndmask_b32_e64 v10, v60, v10, s25
	v_mul_lo_u32 v47, s47, v167
	v_sub_nc_u16 v182, 0, v82
	v_cmp_le_u32_e64 s29, s47, v71
	v_lshrrev_b32_e32 v183, 8, v11
	v_lshrrev_b32_e32 v11, 24, v11
	v_sub_nc_u32_e32 v8, v8, v46
	v_cmp_ne_u32_e64 s23, 0, v177
	s_and_b32 s16, s36, s16
	v_mul_hi_u32 v177, v81, s35
	v_and_b32_e32 v10, 0xff, v10
	v_lshrrev_b32_e32 v40, 16, v82
	v_cndmask_b32_e64 v82, v82, v182, s16
	v_mul_lo_u32 v56, s47, v176
	v_add_co_ci_u32_e64 v71, s29, 0, v165, s29
	v_sub_nc_u16 v57, 0, v179
	v_sub_nc_u16 v72, 0, v11
	v_cmp_le_u32_e64 s29, s47, v8
	v_sub_nc_u32_e32 v80, v80, v47
	v_bfe_i32 v58, v180, 0, 8
	s_and_b32 s23, s36, s23
	v_mul_hi_u32 v178, v10, s35
	v_cmp_ne_u32_e64 s17, 0, v161
	v_and_b32_e32 v82, 0xff, v82
	v_bfe_i32 v42, v164, 0, 8
	v_cndmask_b32_e64 v11, v72, v11, s28
	v_cndmask_b32_e64 v161, v179, v57, s23
	v_mul_lo_u32 v57, s47, v177
	v_add_co_ci_u32_e64 v8, s29, 0, v166, s29
	v_sub_nc_u16 v41, 0, v163
	v_cmp_le_u32_e64 s29, s47, v80
	v_sub_nc_u32_e32 v9, v9, v56
	v_cmp_gt_i16_e64 s24, 0, v58
	s_and_b32 s17, s36, s17
	v_mul_hi_u32 v179, v82, s35
	v_sub_nc_u16 v59, 0, v180
	v_cmp_gt_i16_e64 s18, 0, v42
	v_and_b32_e32 v11, 0xff, v11
	v_cndmask_b32_e64 v83, v163, v41, s17
	v_mul_lo_u32 v58, s47, v178
	v_add_co_ci_u32_e64 v80, s29, 0, v167, s29
	v_sub_nc_u16 v43, 0, v164
	v_cmp_le_u32_e64 s29, s47, v9
	s_and_b32 s24, s36, s24
	v_sub_nc_u32_e32 v81, v81, v57
	s_and_b32 s18, s36, s18
	v_cndmask_b32_e64 v162, v180, v59, s24
	v_mul_hi_u32 v180, v11, s35
	v_and_b32_e32 v83, 0xff, v83
	v_cndmask_b32_e64 v84, v164, v43, s18
	v_mul_lo_u32 v59, s47, v179
	v_add_co_ci_u32_e64 v9, s29, 0, v176, s29
	v_cmp_le_u32_e64 s29, s47, v81
	v_sub_nc_u32_e32 v10, v10, v58
	v_cmp_ne_u32_e64 s26, 0, v181
	v_mul_hi_u32 v181, v83, s35
	v_and_b32_e32 v84, 0xff, v84
	v_mul_lo_u32 v60, s47, v180
	v_add_co_ci_u32_e64 v81, s29, 0, v177, s29
	v_sub_nc_u16 v61, 0, v183
	v_cmp_le_u32_e64 s29, s47, v10
	v_sub_nc_u32_e32 v82, v82, v59
	v_bfe_i32 v62, v40, 0, 8
	s_and_b32 s26, s36, s26
	v_mul_hi_u32 v182, v84, s35
	v_and_b32_e32 v85, 0xff, v85
	v_cndmask_b32_e64 v163, v183, v61, s26
	v_mul_lo_u32 v61, s47, v181
	v_add_co_ci_u32_e64 v10, s29, 0, v178, s29
	v_cmp_le_u32_e64 s29, s47, v82
	v_sub_nc_u32_e32 v11, v11, v60
	v_cmp_gt_i16_e64 s27, 0, v62
	v_mul_hi_u32 v183, v85, s35
	v_sub_nc_u16 v63, 0, v40
	v_and_b32_e32 v160, 0xff, v160
	v_mul_lo_u32 v62, s47, v182
	v_add_co_ci_u32_e64 v82, s29, 0, v179, s29
	v_cmp_le_u32_e64 s29, s47, v11
	s_and_b32 s27, s36, s27
	v_sub_nc_u32_e32 v83, v83, v61
	v_cndmask_b32_e64 v164, v40, v63, s27
	v_mul_hi_u32 v40, v160, s35
	v_and_b32_e32 v161, 0xff, v161
	v_mul_lo_u32 v63, s47, v183
	v_add_co_ci_u32_e64 v11, s29, 0, v180, s29
	v_cmp_le_u32_e64 s29, s47, v83
	v_sub_nc_u32_e32 v84, v84, v62
	v_mul_hi_u32 v41, v161, s35
	v_and_b32_e32 v162, 0xff, v162
	v_mul_lo_u32 v72, s47, v40
	v_add_co_ci_u32_e64 v83, s29, 0, v181, s29
	v_cmp_le_u32_e64 s29, s47, v84
	v_sub_nc_u32_e32 v85, v85, v63
	;; [unrolled: 6-line block ×4, first 2 shown]
	v_mul_hi_u32 v44, v164, s35
	v_mul_lo_u32 v75, s47, v43
	v_sub_nc_u32_e32 v165, 0, v71
	v_add_co_ci_u32_e64 v160, s29, 0, v40, s29
	v_cmp_le_u32_e64 s29, s47, v161
	v_sub_nc_u32_e32 v162, v162, v74
	s_delay_alu instid0(VALU_DEP_4)
	v_cndmask_b32_e32 v71, v71, v165, vcc_lo
	v_mul_lo_u32 v76, s47, v44
	v_sub_nc_u32_e32 v163, v163, v75
	v_add_co_ci_u32_e64 v161, s29, 0, v41, s29
	v_cmp_le_u32_e64 s29, s47, v162
	v_sub_nc_u32_e32 v166, 0, v8
	v_sub_nc_u32_e32 v167, 0, v80
	;; [unrolled: 1-line block ×4, first 2 shown]
	v_add_co_ci_u32_e64 v162, s29, 0, v42, s29
	v_cmp_le_u32_e64 s29, s47, v163
	v_sub_nc_u32_e32 v177, 0, v81
	v_sub_nc_u32_e32 v178, 0, v10
	;; [unrolled: 1-line block ×4, first 2 shown]
	v_add_co_ci_u32_e64 v163, s29, 0, v43, s29
	v_cmp_le_u32_e64 s29, s47, v164
	v_sub_nc_u32_e32 v181, 0, v84
	v_cndmask_b32_e64 v8, v166, v8, s19
	v_cndmask_b32_e64 v80, v80, v167, s14
	v_sub_nc_u32_e32 v166, 0, v85
	v_add_co_ci_u32_e64 v164, s29, 0, v44, s29
	v_sub_nc_u32_e32 v167, 0, v160
	v_cndmask_b32_e64 v9, v176, v9, s22
	v_cndmask_b32_e64 v81, v81, v177, s15
	v_sub_nc_u32_e32 v176, 0, v161
	v_sub_nc_u32_e32 v177, 0, v162
	v_cndmask_b32_e64 v10, v178, v10, s25
	v_cndmask_b32_e64 v82, v82, v179, s16
	v_sub_nc_u32_e32 v178, 0, v163
	v_sub_nc_u32_e32 v179, 0, v164
	;; [unrolled: 1-line block ×3, first 2 shown]
	v_cndmask_b32_e64 v83, v83, v165, s17
	v_cndmask_b32_e64 v84, v84, v181, s18
	;; [unrolled: 1-line block ×9, first 2 shown]
	v_lshlrev_b32_e32 v83, 8, v83
	v_and_b32_e32 v84, 0xff, v84
	v_lshlrev_b32_e32 v85, 8, v85
	v_and_b32_e32 v160, 0xff, v160
	;; [unrolled: 2-line block ×4, first 2 shown]
	v_lshlrev_b32_e32 v8, 24, v8
	v_lshlrev_b32_e32 v9, 24, v9
	;; [unrolled: 1-line block ×5, first 2 shown]
	v_perm_b32 v71, v83, v71, 0xc0c0500
	v_lshlrev_b32_e32 v83, 16, v160
	v_perm_b32 v80, v85, v80, 0xc0c0500
	v_lshlrev_b32_e32 v85, 16, v162
	;; [unrolled: 2-line block ×3, first 2 shown]
	v_perm_b32 v82, v163, v82, 0xc0c0500
	v_or3_b32 v8, v8, v84, v71
	v_or3_b32 v9, v9, v83, v80
	v_or3_b32 v10, v10, v85, v81
	s_mov_b64 s[14:15], 0
	v_or3_b32 v11, v11, v160, v82
	s_mov_b32 s16, -1
.LBB6_658:                              ;   Parent Loop BB6_51 Depth=1
                                        ;     Parent Loop BB6_558 Depth=2
                                        ;       Parent Loop BB6_657 Depth=3
                                        ; =>      This Inner Loop Header: Depth=4
	s_cmp_eq_u32 s14, 0
	v_cndmask_b32_e64 v71, 0, 1, s16
	s_cselect_b32 vcc_lo, -1, 0
	s_cmp_eq_u32 s14, 1
	s_mov_b32 s16, 0
	s_cselect_b32 s14, -1, 0
	s_delay_alu instid0(SALU_CYCLE_1) | instskip(SKIP_1) | instid1(VALU_DEP_2)
	v_cndmask_b32_e64 v80, v12, v14, s14
	v_cndmask_b32_e64 v81, v13, v15, s14
	v_add_co_u32 v82, s15, 0x200, v80
	s_delay_alu instid0(VALU_DEP_1) | instskip(SKIP_1) | instid1(VALU_DEP_3)
	v_add_co_ci_u32_e64 v83, s15, 0, v81, s15
	v_cmp_ne_u32_e64 s15, 1, v71
	v_cndmask_b32_e64 v14, v14, v82, s14
	v_cndmask_b32_e32 v12, v12, v82, vcc_lo
	s_delay_alu instid0(VALU_DEP_4)
	v_cndmask_b32_e64 v15, v15, v83, s14
	v_cndmask_b32_e32 v13, v13, v83, vcc_lo
	s_and_b32 vcc_lo, exec_lo, s15
	s_mov_b64 s[14:15], 1
	global_store_b128 v[80:81], v[8:11], off glc slc dlc
	s_cbranch_vccz .LBB6_658
; %bb.659:                              ;   in Loop: Header=BB6_657 Depth=3
	v_add_co_u32 v16, vcc_lo, v16, v116
	v_add_co_ci_u32_e32 v17, vcc_lo, v17, v117, vcc_lo
	v_add_co_u32 v18, vcc_lo, v18, v116
	v_sub_nc_u32_e32 v70, v70, v100
	v_add_co_ci_u32_e32 v19, vcc_lo, v19, v117, vcc_lo
	v_add_co_u32 v12, vcc_lo, v12, v102
	v_add_co_ci_u32_e32 v13, vcc_lo, v13, v114, vcc_lo
	s_delay_alu instid0(VALU_DEP_4) | instskip(SKIP_1) | instid1(VALU_DEP_1)
	v_cmp_gt_i32_e32 vcc_lo, 16, v70
	v_add_co_u32 v14, s14, v14, v102
	v_add_co_ci_u32_e64 v15, s14, v15, v114, s14
	v_sub_nc_u32_e32 v23, v23, v97
	s_or_b32 s34, vcc_lo, s34
	s_delay_alu instid0(SALU_CYCLE_1)
	s_and_not1_b32 exec_lo, exec_lo, s34
	s_cbranch_execnz .LBB6_657
; %bb.660:                              ;   in Loop: Header=BB6_558 Depth=2
	s_or_b32 exec_lo, exec_lo, s34
.LBB6_661:                              ;   in Loop: Header=BB6_558 Depth=2
	s_delay_alu instid0(SALU_CYCLE_1) | instskip(SKIP_3) | instid1(VALU_DEP_1)
	s_or_b32 exec_lo, exec_lo, s31
	v_and_b32_e32 v9, 15, v151
	s_mov_b32 s14, vcc_hi
	s_mov_b32 s15, exec_lo
                                        ; implicit-def: $vgpr16
                                        ; implicit-def: $vgpr18
                                        ; implicit-def: $vgpr8
	v_cndmask_b32_e64 v17, v22, v9, s13
	s_delay_alu instid0(VALU_DEP_1)
	v_cmpx_ne_u32_e32 0, v17
	s_cbranch_execz .LBB6_663
; %bb.662:                              ;   in Loop: Header=BB6_558 Depth=2
	v_cmp_lt_i32_e32 vcc_lo, 0, v23
	v_sub_nc_u32_e32 v9, v22, v9
	v_cndmask_b32_e32 v8, 0, v97, vcc_lo
	s_delay_alu instid0(VALU_DEP_2) | instskip(SKIP_1) | instid1(VALU_DEP_2)
	v_cndmask_b32_e64 v9, 0, v9, s13
	s_or_b32 s14, vcc_hi, exec_lo
	v_sub_nc_u32_e32 v8, v8, v23
	s_delay_alu instid0(VALU_DEP_2) | instskip(NEXT) | instid1(VALU_DEP_2)
	v_add3_u32 v16, v2, v20, v9
	v_lshl_add_u32 v18, v8, 5, v21
	s_delay_alu instid0(VALU_DEP_1) | instskip(NEXT) | instid1(VALU_DEP_1)
	v_ashrrev_i32_e32 v8, 31, v18
	v_lshrrev_b32_e32 v8, 27, v8
	s_delay_alu instid0(VALU_DEP_1) | instskip(NEXT) | instid1(VALU_DEP_1)
	v_add_nc_u32_e32 v8, v18, v8
	v_ashrrev_i32_e32 v8, 5, v8
.LBB6_663:                              ;   in Loop: Header=BB6_558 Depth=2
	s_or_b32 exec_lo, exec_lo, s15
	s_delay_alu instid0(SALU_CYCLE_1) | instskip(SKIP_1) | instid1(SALU_CYCLE_1)
	s_and_not1_b32 s13, vcc_hi, exec_lo
	s_and_b32 s14, s14, exec_lo
	s_or_b32 vcc_hi, s13, s14
.LBB6_664:                              ;   in Loop: Header=BB6_558 Depth=2
	s_or_b32 exec_lo, exec_lo, s30
	s_branch .LBB6_666
.LBB6_665:                              ;   in Loop: Header=BB6_558 Depth=2
	v_dual_mov_b32 v16, s14 :: v_dual_mov_b32 v17, v151
	v_mov_b32_e32 v18, v0
	v_mov_b32_e32 v8, v98
.LBB6_666:                              ;   in Loop: Header=BB6_558 Depth=2
	s_and_saveexec_b32 s49, vcc_hi
	s_cbranch_execz .LBB6_680
; %bb.667:                              ;   in Loop: Header=BB6_558 Depth=2
	v_ashrrev_i32_e32 v2, 31, v17
	s_mov_b32 s50, exec_lo
	s_delay_alu instid0(VALU_DEP_1) | instskip(NEXT) | instid1(VALU_DEP_1)
	v_lshrrev_b32_e32 v2, 22, v2
	v_add_nc_u32_e32 v2, v17, v2
	s_delay_alu instid0(VALU_DEP_1) | instskip(NEXT) | instid1(VALU_DEP_1)
	v_ashrrev_i32_e32 v19, 10, v2
	v_sub_nc_u32_e32 v2, v19, v8
	s_delay_alu instid0(VALU_DEP_1)
	v_cmpx_lt_i32_e32 0, v2
	s_cbranch_execz .LBB6_672
; %bb.668:                              ;   in Loop: Header=BB6_558 Depth=2
	v_cvt_f32_u32_e32 v9, s47
	s_sub_i32 s14, 0, s47
	s_mov_b32 s51, 0
	s_delay_alu instid0(VALU_DEP_1) | instskip(SKIP_2) | instid1(VALU_DEP_1)
	v_rcp_iflag_f32_e32 v9, v9
	s_waitcnt_depctr 0xfff
	v_mul_f32_e32 v9, 0x4f7ffffe, v9
	v_cvt_u32_f32_e32 v9, v9
	s_delay_alu instid0(VALU_DEP_1) | instskip(NEXT) | instid1(VALU_DEP_1)
	v_readfirstlane_b32 s13, v9
	s_mul_i32 s14, s14, s13
	s_delay_alu instid0(SALU_CYCLE_1) | instskip(NEXT) | instid1(SALU_CYCLE_1)
	s_mul_hi_u32 s14, s13, s14
	s_add_i32 s13, s13, s14
	s_delay_alu instid0(SALU_CYCLE_1) | instskip(NEXT) | instid1(SALU_CYCLE_1)
	s_mul_hi_u32 s13, s13, -1
	s_mul_i32 s14, s13, s47
	s_add_i32 s15, s13, 1
	s_not_b32 s14, s14
	s_delay_alu instid0(SALU_CYCLE_1)
	s_sub_i32 s16, s14, s47
	s_cmp_ge_u32 s14, s47
	s_cselect_b32 s13, s15, s13
	s_cselect_b32 s14, s16, s14
	s_add_i32 s15, s13, 1
	s_cmp_ge_u32 s14, s47
	s_cselect_b32 s52, s15, s13
	s_cbranch_execnz .LBB6_1760
; %bb.669:                              ;   in Loop: Header=BB6_558 Depth=2
	v_ashrrev_i32_e32 v9, 31, v18
	v_lshlrev_b32_e32 v8, 10, v8
	s_cmp_lt_i32 s48, 0
	s_cselect_b32 s53, -1, 0
	s_delay_alu instid0(VALU_DEP_2) | instskip(NEXT) | instid1(VALU_DEP_1)
	v_lshrrev_b32_e32 v9, 27, v9
	v_add_nc_u32_e32 v13, v18, v9
	ds_load_b128 v[9:12], v0
	v_and_b32_e32 v13, 0xffffffe0, v13
	s_delay_alu instid0(VALU_DEP_1) | instskip(NEXT) | instid1(VALU_DEP_1)
	v_sub_nc_u32_e32 v13, v18, v13
	v_add3_u32 v13, v16, v13, v8
	s_delay_alu instid0(VALU_DEP_1) | instskip(SKIP_2) | instid1(VALU_DEP_2)
	v_ashrrev_i32_e32 v14, 31, v13
	s_waitcnt lgkmcnt(0)
	v_add_co_u32 v8, vcc_lo, v9, v13
	v_add_co_ci_u32_e32 v9, vcc_lo, v10, v14, vcc_lo
	v_add_co_u32 v10, vcc_lo, v11, v13
	v_add_co_ci_u32_e32 v11, vcc_lo, v12, v14, vcc_lo
	s_delay_alu instid0(VALU_DEP_3) | instskip(NEXT) | instid1(VALU_DEP_2)
	v_dual_mov_b32 v13, v9 :: v_dual_mov_b32 v12, v8
	v_dual_mov_b32 v15, v11 :: v_dual_mov_b32 v14, v10
.LBB6_670:                              ;   Parent Loop BB6_51 Depth=1
                                        ;     Parent Loop BB6_558 Depth=2
                                        ; =>    This Inner Loop Header: Depth=3
	s_clause 0x1f
	flat_load_u8 v20, v[8:9] slc dlc
	flat_load_u8 v21, v[8:9] offset:32 slc dlc
	flat_load_u8 v22, v[8:9] offset:64 slc dlc
	;; [unrolled: 1-line block ×31, first 2 shown]
	s_clause 0x1f
	flat_load_u8 v44, v[10:11] slc dlc
	flat_load_u8 v45, v[10:11] offset:32 slc dlc
	flat_load_u8 v46, v[10:11] offset:64 slc dlc
	flat_load_u8 v47, v[10:11] offset:96 slc dlc
	flat_load_u8 v56, v[10:11] offset:128 slc dlc
	flat_load_u8 v57, v[10:11] offset:160 slc dlc
	flat_load_u8 v58, v[10:11] offset:192 slc dlc
	flat_load_u8 v59, v[10:11] offset:224 slc dlc
	flat_load_u8 v60, v[10:11] offset:256 slc dlc
	flat_load_u8 v61, v[10:11] offset:288 slc dlc
	flat_load_u8 v62, v[10:11] offset:320 slc dlc
	flat_load_u8 v63, v[10:11] offset:352 slc dlc
	flat_load_u8 v72, v[10:11] offset:384 slc dlc
	flat_load_u8 v73, v[10:11] offset:416 slc dlc
	flat_load_u8 v74, v[10:11] offset:448 slc dlc
	flat_load_u8 v75, v[10:11] offset:480 slc dlc
	flat_load_u8 v76, v[10:11] offset:512 slc dlc
	flat_load_u8 v77, v[10:11] offset:544 slc dlc
	flat_load_u8 v78, v[10:11] offset:576 slc dlc
	flat_load_u8 v79, v[10:11] offset:608 slc dlc
	flat_load_u8 v88, v[10:11] offset:640 slc dlc
	flat_load_u8 v89, v[10:11] offset:672 slc dlc
	flat_load_u8 v90, v[10:11] offset:704 slc dlc
	flat_load_u8 v91, v[10:11] offset:736 slc dlc
	flat_load_u8 v92, v[10:11] offset:768 slc dlc
	flat_load_u8 v93, v[10:11] offset:800 slc dlc
	flat_load_u8 v94, v[10:11] offset:832 slc dlc
	flat_load_u8 v95, v[10:11] offset:864 slc dlc
	flat_load_u8 v104, v[10:11] offset:896 slc dlc
	flat_load_u8 v105, v[10:11] offset:928 slc dlc
	flat_load_u8 v106, v[10:11] offset:960 slc dlc
	flat_load_u8 v107, v[10:11] offset:992 slc dlc
	v_add_co_u32 v8, vcc_lo, v8, v119
	v_sub_nc_u32_e32 v2, v2, v97
	v_add_co_ci_u32_e32 v9, vcc_lo, v9, v128, vcc_lo
	v_add_co_u32 v10, vcc_lo, v10, v119
	v_add_co_ci_u32_e32 v11, vcc_lo, v11, v128, vcc_lo
	s_delay_alu instid0(VALU_DEP_4)
	v_cmp_gt_i32_e32 vcc_lo, 1, v2
	s_waitcnt vmcnt(31) lgkmcnt(31)
	v_add_nc_u16 v20, v44, v20
	s_waitcnt vmcnt(30) lgkmcnt(30)
	v_add_nc_u16 v21, v45, v21
	;; [unrolled: 2-line block ×5, first 2 shown]
	v_bfe_i32 v44, v20, 0, 8
	v_bfe_i32 v45, v21, 0, 8
	v_sub_nc_u16 v108, 0, v20
	v_bfe_i32 v46, v22, 0, 8
	v_sub_nc_u16 v109, 0, v21
	v_cmp_gt_i16_e64 s13, 0, v44
	v_cmp_gt_i16_e64 s14, 0, v45
	v_bfe_i32 v47, v23, 0, 8
	v_cmp_gt_i16_e64 s15, 0, v46
	v_sub_nc_u16 v110, 0, v22
	s_and_b32 s13, s53, s13
	s_and_b32 s14, s53, s14
	v_cndmask_b32_e64 v20, v20, v108, s13
	v_cndmask_b32_e64 v21, v21, v109, s14
	s_and_b32 s15, s53, s15
	v_cmp_gt_i16_e64 s16, 0, v47
	v_bfe_i32 v56, v70, 0, 8
	v_and_b32_e32 v20, 0xff, v20
	v_and_b32_e32 v21, 0xff, v21
	v_cndmask_b32_e64 v22, v22, v110, s15
	s_waitcnt vmcnt(26) lgkmcnt(26)
	v_add_nc_u16 v71, v57, v71
	v_sub_nc_u16 v111, 0, v23
	v_mul_hi_u32 v44, v20, s52
	s_and_b32 s16, s53, s16
	v_mul_hi_u32 v45, v21, s52
	v_cmp_gt_i16_e64 s17, 0, v56
	v_and_b32_e32 v22, 0xff, v22
	v_bfe_i32 v57, v71, 0, 8
	v_cndmask_b32_e64 v23, v23, v111, s16
	s_waitcnt vmcnt(25) lgkmcnt(25)
	v_add_nc_u16 v80, v58, v80
	v_mul_lo_u32 v108, s47, v44
	v_sub_nc_u16 v120, 0, v70
	s_and_b32 s17, s53, s17
	v_mul_hi_u32 v46, v22, s52
	v_cmp_gt_i16_e64 s18, 0, v57
	v_and_b32_e32 v23, 0xff, v23
	v_bfe_i32 v58, v80, 0, 8
	v_cndmask_b32_e64 v70, v70, v120, s17
	v_mul_lo_u32 v109, s47, v45
	s_waitcnt vmcnt(24) lgkmcnt(24)
	v_add_nc_u16 v81, v59, v81
	v_sub_nc_u16 v121, 0, v71
	v_sub_nc_u32_e32 v20, v20, v108
	s_and_b32 s18, s53, s18
	v_mul_hi_u32 v47, v23, s52
	v_cmp_gt_i16_e64 s19, 0, v58
	v_and_b32_e32 v70, 0xff, v70
	v_bfe_i32 v59, v81, 0, 8
	v_cndmask_b32_e64 v71, v71, v121, s18
	v_mul_lo_u32 v110, s47, v46
	s_waitcnt vmcnt(23) lgkmcnt(23)
	v_add_nc_u16 v82, v60, v82
	v_sub_nc_u16 v122, 0, v80
	v_cmp_le_u32_e64 s46, s47, v20
	v_sub_nc_u32_e32 v21, v21, v109
	s_and_b32 s19, s53, s19
	v_mul_hi_u32 v56, v70, s52
	v_cmp_gt_i16_e64 s20, 0, v59
	v_and_b32_e32 v71, 0xff, v71
	v_bfe_i32 v60, v82, 0, 8
	v_cndmask_b32_e64 v80, v80, v122, s19
	v_mul_lo_u32 v111, s47, v47
	v_add_co_ci_u32_e64 v20, s46, 0, v44, s46
	s_waitcnt vmcnt(22) lgkmcnt(22)
	v_add_nc_u16 v83, v61, v83
	v_sub_nc_u16 v123, 0, v81
	v_cmp_le_u32_e64 s46, s47, v21
	v_sub_nc_u32_e32 v22, v22, v110
	s_and_b32 s20, s53, s20
	v_mul_hi_u32 v57, v71, s52
	v_cmp_gt_i16_e64 s21, 0, v60
	v_and_b32_e32 v80, 0xff, v80
	v_bfe_i32 v61, v83, 0, 8
	v_cndmask_b32_e64 v81, v81, v123, s20
	v_mul_lo_u32 v120, s47, v56
	v_add_co_ci_u32_e64 v21, s46, 0, v45, s46
	;; [unrolled: 13-line block ×10, first 2 shown]
	s_waitcnt vmcnt(13) lgkmcnt(13)
	v_add_nc_u16 v166, v78, v166
	v_sub_nc_u16 v140, 0, v164
	v_cmp_le_u32_e64 s46, s47, v84
	v_sub_nc_u32_e32 v85, v85, v127
	s_and_b32 s29, s53, s29
	v_mul_hi_u32 v74, v162, s52
	v_cmp_gt_i16_e64 vcc_hi, 0, v77
	v_and_b32_e32 v163, 0xff, v163
	v_bfe_i32 v78, v166, 0, 8
	v_cndmask_b32_e64 v164, v164, v140, s29
	v_mul_lo_u32 v137, s47, v73
	v_add_co_ci_u32_e64 v84, s46, 0, v62, s46
	s_waitcnt vmcnt(12) lgkmcnt(12)
	v_add_nc_u16 v167, v79, v167
	v_sub_nc_u16 v141, 0, v165
	v_cmp_le_u32_e64 s46, s47, v85
	v_sub_nc_u32_e32 v160, v160, v136
	s_and_b32 vcc_hi, s53, vcc_hi
	v_mul_hi_u32 v75, v163, s52
	v_cmp_gt_i16_e64 s30, 0, v78
	v_and_b32_e32 v164, 0xff, v164
	v_bfe_i32 v79, v167, 0, 8
	v_cndmask_b32_e64 v165, v165, v141, vcc_hi
	v_mul_lo_u32 v138, s47, v74
	v_add_co_ci_u32_e64 v85, s46, 0, v63, s46
	s_waitcnt vmcnt(11) lgkmcnt(11)
	v_add_nc_u16 v176, v88, v176
	v_sub_nc_u16 v142, 0, v166
	v_cmp_le_u32_e64 s46, s47, v160
	v_sub_nc_u32_e32 v161, v161, v137
	s_and_b32 s30, s53, s30
	v_mul_hi_u32 v76, v164, s52
	v_cmp_gt_i16_e64 s31, 0, v79
	v_and_b32_e32 v165, 0xff, v165
	v_bfe_i32 v88, v176, 0, 8
	v_cndmask_b32_e64 v166, v166, v142, s30
	v_mul_lo_u32 v139, s47, v75
	v_add_co_ci_u32_e64 v160, s46, 0, v72, s46
	s_waitcnt vmcnt(10) lgkmcnt(10)
	v_add_nc_u16 v177, v89, v177
	v_sub_nc_u16 v143, 0, v167
	v_cmp_le_u32_e64 s46, s47, v161
	v_sub_nc_u32_e32 v162, v162, v138
	s_and_b32 s31, s53, s31
	v_mul_hi_u32 v77, v165, s52
	v_cmp_gt_i16_e64 s34, 0, v88
	v_and_b32_e32 v166, 0xff, v166
	v_bfe_i32 v89, v177, 0, 8
	v_cndmask_b32_e64 v167, v167, v143, s31
	;; [unrolled: 13-line block ×12, first 2 shown]
	v_mul_lo_u32 v158, s47, v94
	v_add_co_ci_u32_e64 v179, s46, 0, v91, s46
	v_sub_nc_u16 v170, 0, v42
	v_cmp_le_u32_e64 s46, s47, v180
	v_sub_nc_u32_e32 v181, v181, v157
	s_and_b32 s44, s53, s44
	v_mul_hi_u32 v104, v40, s52
	v_cmp_gt_i16_e64 s45, 0, v107
	v_and_b32_e32 v41, 0xff, v41
	v_cndmask_b32_e64 v42, v42, v170, s44
	v_mul_lo_u32 v159, s47, v95
	v_add_co_ci_u32_e64 v180, s46, 0, v92, s46
	v_sub_nc_u16 v171, 0, v43
	v_cmp_le_u32_e64 s46, s47, v181
	v_sub_nc_u32_e32 v182, v182, v158
	s_and_b32 s45, s53, s45
	v_mul_hi_u32 v105, v41, s52
	v_and_b32_e32 v42, 0xff, v42
	v_cndmask_b32_e64 v43, v43, v171, s45
	v_mul_lo_u32 v168, s47, v104
	v_add_co_ci_u32_e64 v181, s46, 0, v93, s46
	v_cmp_le_u32_e64 s46, s47, v182
	v_sub_nc_u32_e32 v183, v183, v159
	v_mul_hi_u32 v106, v42, s52
	v_and_b32_e32 v43, 0xff, v43
	v_mul_lo_u32 v169, s47, v105
	v_add_co_ci_u32_e64 v182, s46, 0, v94, s46
	v_cmp_le_u32_e64 s46, s47, v183
	v_sub_nc_u32_e32 v40, v40, v168
	v_mul_hi_u32 v107, v43, s52
	v_mul_lo_u32 v170, s47, v106
	v_sub_nc_u32_e32 v44, 0, v20
	v_add_co_ci_u32_e64 v183, s46, 0, v95, s46
	v_cmp_le_u32_e64 s46, s47, v40
	v_sub_nc_u32_e32 v41, v41, v169
	v_sub_nc_u32_e32 v45, 0, v21
	v_mul_lo_u32 v171, s47, v107
	v_sub_nc_u32_e32 v42, v42, v170
	v_add_co_ci_u32_e64 v40, s46, 0, v104, s46
	v_cmp_le_u32_e64 s46, s47, v41
	v_sub_nc_u32_e32 v46, 0, v22
	v_sub_nc_u32_e32 v47, 0, v23
	v_sub_nc_u32_e32 v56, 0, v70
	v_sub_nc_u32_e32 v43, v43, v171
	v_add_co_ci_u32_e64 v41, s46, 0, v105, s46
	v_cmp_le_u32_e64 s46, s47, v42
	v_sub_nc_u32_e32 v57, 0, v71
	v_sub_nc_u32_e32 v58, 0, v80
	v_sub_nc_u32_e32 v59, 0, v81
	;; [unrolled: 6-line block ×3, first 2 shown]
	v_sub_nc_u32_e32 v72, 0, v160
	v_add_co_ci_u32_e64 v43, s46, 0, v107, s46
	v_sub_nc_u32_e32 v73, 0, v161
	v_sub_nc_u32_e32 v74, 0, v162
	;; [unrolled: 1-line block ×19, first 2 shown]
	v_cndmask_b32_e64 v20, v20, v44, s13
	v_cndmask_b32_e64 v21, v21, v45, s14
	;; [unrolled: 1-line block ×17, first 2 shown]
	v_cndmask_b32_e64 v165, v165, v77, vcc_hi
	v_cndmask_b32_e64 v166, v166, v78, s30
	v_cndmask_b32_e64 v167, v167, v79, s31
	;; [unrolled: 1-line block ×14, first 2 shown]
	s_clause 0x1f
	flat_store_b8 v[12:13], v20 glc slc dlc
	flat_store_b8 v[12:13], v21 offset:32 glc slc dlc
	flat_store_b8 v[12:13], v22 offset:64 glc slc dlc
	;; [unrolled: 1-line block ×31, first 2 shown]
	s_clause 0x1f
	flat_store_b8 v[14:15], v20 glc slc dlc
	flat_store_b8 v[14:15], v21 offset:32 glc slc dlc
	flat_store_b8 v[14:15], v22 offset:64 glc slc dlc
	;; [unrolled: 1-line block ×31, first 2 shown]
	v_add_co_u32 v12, s13, v12, v119
	s_delay_alu instid0(VALU_DEP_1) | instskip(SKIP_1) | instid1(VALU_DEP_1)
	v_add_co_ci_u32_e64 v13, s13, v13, v128, s13
	v_add_co_u32 v14, s13, v14, v119
	v_add_co_ci_u32_e64 v15, s13, v15, v128, s13
	s_or_b32 s51, vcc_lo, s51
	s_delay_alu instid0(SALU_CYCLE_1)
	s_and_not1_b32 exec_lo, exec_lo, s51
	s_cbranch_execnz .LBB6_670
; %bb.671:                              ;   in Loop: Header=BB6_558 Depth=2
	s_or_b32 exec_lo, exec_lo, s51
.LBB6_672:                              ;   in Loop: Header=BB6_558 Depth=2
	s_delay_alu instid0(SALU_CYCLE_1) | instskip(SKIP_2) | instid1(VALU_DEP_1)
	s_or_b32 exec_lo, exec_lo, s50
	v_lshlrev_b32_e32 v8, 10, v19
	s_mov_b32 s15, exec_lo
	v_cmpx_ne_u32_e64 v17, v8
	s_cbranch_execz .LBB6_679
; %bb.673:                              ;   in Loop: Header=BB6_558 Depth=2
	v_ashrrev_i32_e32 v9, 31, v18
	v_lshlrev_b32_e32 v2, 5, v2
	s_delay_alu instid0(VALU_DEP_2) | instskip(NEXT) | instid1(VALU_DEP_1)
	v_lshrrev_b32_e32 v9, 27, v9
	v_add_nc_u32_e32 v9, v18, v9
	s_delay_alu instid0(VALU_DEP_1) | instskip(NEXT) | instid1(VALU_DEP_1)
	v_and_b32_e32 v9, 0xffffffe0, v9
	v_sub_nc_u32_e32 v9, v18, v9
	s_delay_alu instid0(VALU_DEP_1) | instskip(NEXT) | instid1(VALU_DEP_1)
	v_sub_nc_u32_e32 v2, v9, v2
	v_add_nc_u32_e32 v8, v8, v2
	s_delay_alu instid0(VALU_DEP_1) | instskip(NEXT) | instid1(VALU_DEP_1)
	v_sub_nc_u32_e32 v2, v17, v8
	v_cmp_lt_i32_e32 vcc_lo, 0, v2
	s_and_b32 exec_lo, exec_lo, vcc_lo
	s_cbranch_execz .LBB6_679
; %bb.674:                              ;   in Loop: Header=BB6_558 Depth=2
	v_cvt_f32_u32_e32 v9, s47
	s_sub_i32 s14, 0, s47
	s_mov_b32 s18, 0
	s_delay_alu instid0(VALU_DEP_1) | instskip(SKIP_2) | instid1(VALU_DEP_1)
	v_rcp_iflag_f32_e32 v9, v9
	s_waitcnt_depctr 0xfff
	v_mul_f32_e32 v9, 0x4f7ffffe, v9
	v_cvt_u32_f32_e32 v9, v9
	s_delay_alu instid0(VALU_DEP_1) | instskip(NEXT) | instid1(VALU_DEP_1)
	v_readfirstlane_b32 s13, v9
	s_mul_i32 s14, s14, s13
	s_delay_alu instid0(SALU_CYCLE_1) | instskip(NEXT) | instid1(SALU_CYCLE_1)
	s_mul_hi_u32 s14, s13, s14
	s_add_i32 s13, s13, s14
	s_delay_alu instid0(SALU_CYCLE_1) | instskip(NEXT) | instid1(SALU_CYCLE_1)
	s_mul_hi_u32 s13, s13, -1
	s_mul_i32 s14, s13, s47
	s_add_i32 s16, s13, 1
	s_not_b32 s14, s14
	s_delay_alu instid0(SALU_CYCLE_1)
	s_sub_i32 s17, s14, s47
	s_cmp_ge_u32 s14, s47
	s_cselect_b32 s13, s16, s13
	s_cselect_b32 s14, s17, s14
	s_add_i32 s16, s13, 1
	s_cmp_ge_u32 s14, s47
	s_cselect_b32 s19, s16, s13
	s_cbranch_execnz .LBB6_1822
; %bb.675:                              ;   in Loop: Header=BB6_558 Depth=2
	ds_load_b128 v[9:12], v0
	v_add_nc_u32_e32 v13, v8, v16
	s_cmp_lt_i32 s48, 0
	s_cselect_b32 s20, -1, 0
	s_delay_alu instid0(VALU_DEP_1) | instskip(SKIP_2) | instid1(VALU_DEP_2)
	v_ashrrev_i32_e32 v14, 31, v13
	s_waitcnt lgkmcnt(0)
	v_add_co_u32 v8, vcc_lo, v9, v13
	v_add_co_ci_u32_e32 v9, vcc_lo, v10, v14, vcc_lo
	v_add_co_u32 v10, vcc_lo, v11, v13
	v_add_co_ci_u32_e32 v11, vcc_lo, v12, v14, vcc_lo
	s_delay_alu instid0(VALU_DEP_3) | instskip(NEXT) | instid1(VALU_DEP_2)
	v_dual_mov_b32 v13, v9 :: v_dual_mov_b32 v12, v8
	v_dual_mov_b32 v15, v11 :: v_dual_mov_b32 v14, v10
.LBB6_676:                              ;   Parent Loop BB6_51 Depth=1
                                        ;     Parent Loop BB6_558 Depth=2
                                        ; =>    This Loop Header: Depth=3
                                        ;         Child Loop BB6_677 Depth 4
	flat_load_u8 v16, v[12:13] slc dlc
	flat_load_u8 v17, v[14:15] slc dlc
	s_mov_b64 s[16:17], 0
	s_mov_b32 s21, -1
	s_waitcnt vmcnt(0) lgkmcnt(0)
	v_add_nc_u16 v16, v17, v16
	s_delay_alu instid0(VALU_DEP_1) | instskip(NEXT) | instid1(VALU_DEP_1)
	v_bfe_i32 v17, v16, 0, 8
	v_cmp_gt_i16_e32 vcc_lo, 0, v17
	v_sub_nc_u16 v17, 0, v16
	s_and_b32 vcc_lo, s20, vcc_lo
	s_delay_alu instid0(VALU_DEP_1) | instskip(NEXT) | instid1(VALU_DEP_1)
	v_cndmask_b32_e32 v16, v16, v17, vcc_lo
	v_and_b32_e32 v16, 0xff, v16
	s_delay_alu instid0(VALU_DEP_1) | instskip(NEXT) | instid1(VALU_DEP_1)
	v_mul_hi_u32 v17, v16, s19
	v_mul_lo_u32 v18, s47, v17
	s_delay_alu instid0(VALU_DEP_1) | instskip(NEXT) | instid1(VALU_DEP_1)
	v_sub_nc_u32_e32 v16, v16, v18
	v_cmp_le_u32_e64 s13, s47, v16
	s_delay_alu instid0(VALU_DEP_1) | instskip(NEXT) | instid1(VALU_DEP_1)
	v_add_co_ci_u32_e64 v16, s13, 0, v17, s13
	v_sub_nc_u32_e32 v17, 0, v16
	s_delay_alu instid0(VALU_DEP_1)
	v_cndmask_b32_e32 v16, v16, v17, vcc_lo
.LBB6_677:                              ;   Parent Loop BB6_51 Depth=1
                                        ;     Parent Loop BB6_558 Depth=2
                                        ;       Parent Loop BB6_676 Depth=3
                                        ; =>      This Inner Loop Header: Depth=4
	s_cmp_eq_u32 s16, 1
	s_cselect_b32 vcc_lo, -1, 0
	s_cmp_eq_u32 s16, 0
	v_dual_cndmask_b32 v18, v9, v11 :: v_dual_cndmask_b32 v17, v8, v10
	s_mov_b64 s[16:17], 1
	s_delay_alu instid0(VALU_DEP_1) | instskip(NEXT) | instid1(VALU_DEP_1)
	v_add_co_u32 v19, s13, v17, 32
	v_add_co_ci_u32_e64 v20, s13, 0, v18, s13
	s_cselect_b32 s13, -1, 0
	s_and_b32 s14, exec_lo, s21
	s_delay_alu instid0(VALU_DEP_1)
	v_dual_cndmask_b32 v10, v10, v19 :: v_dual_cndmask_b32 v11, v11, v20
	v_cndmask_b32_e64 v9, v9, v20, s13
	v_cndmask_b32_e64 v8, v8, v19, s13
	s_mov_b32 s21, 0
	s_mov_b32 vcc_lo, s14
	flat_store_b8 v[17:18], v16 glc slc dlc
	s_cbranch_vccnz .LBB6_677
; %bb.678:                              ;   in Loop: Header=BB6_676 Depth=3
	v_add_co_u32 v12, vcc_lo, v12, v130
	v_add_co_ci_u32_e32 v13, vcc_lo, v13, v131, vcc_lo
	v_add_co_u32 v14, vcc_lo, v14, v130
	v_sub_nc_u32_e32 v2, v2, v115
	v_add_co_ci_u32_e32 v15, vcc_lo, v15, v131, vcc_lo
	v_add_co_u32 v8, vcc_lo, v8, v118
	v_add_co_ci_u32_e32 v9, vcc_lo, v9, v129, vcc_lo
	s_delay_alu instid0(VALU_DEP_4) | instskip(SKIP_1) | instid1(VALU_DEP_1)
	v_cmp_gt_i32_e32 vcc_lo, 1, v2
	v_add_co_u32 v10, s13, v10, v118
	v_add_co_ci_u32_e64 v11, s13, v11, v129, s13
	s_or_b32 s18, vcc_lo, s18
	s_delay_alu instid0(SALU_CYCLE_1)
	s_and_not1_b32 exec_lo, exec_lo, s18
	s_cbranch_execnz .LBB6_676
.LBB6_679:                              ;   in Loop: Header=BB6_558 Depth=2
	s_or_b32 exec_lo, exec_lo, s15
.LBB6_680:                              ;   in Loop: Header=BB6_558 Depth=2
	s_delay_alu instid0(SALU_CYCLE_1)
	s_or_b32 exec_lo, exec_lo, s49
	s_mov_b32 s13, 0
.LBB6_681:                              ;   in Loop: Header=BB6_558 Depth=2
	s_delay_alu instid0(SALU_CYCLE_1)
	s_and_b32 vcc_lo, exec_lo, s13
	s_cbranch_vccz .LBB6_719
; %bb.682:                              ;   in Loop: Header=BB6_558 Depth=2
	s_mov_b32 s13, -1
	s_and_saveexec_b32 s14, s12
	s_cbranch_execz .LBB6_684
; %bb.683:                              ;   in Loop: Header=BB6_558 Depth=2
	ds_load_b32 v2, v0 offset:720
	s_waitcnt lgkmcnt(0)
	v_and_b32_e32 v2, 15, v2
	s_delay_alu instid0(VALU_DEP_1)
	v_cmp_eq_u32_e32 vcc_lo, 0, v2
	s_or_not1_b32 s13, vcc_lo, exec_lo
.LBB6_684:                              ;   in Loop: Header=BB6_558 Depth=2
	s_or_b32 exec_lo, exec_lo, s14
	s_and_saveexec_b32 s14, s5
	s_cbranch_execz .LBB6_686
; %bb.685:                              ;   in Loop: Header=BB6_558 Depth=2
	ds_load_b32 v2, v0 offset:784
	s_waitcnt lgkmcnt(0)
	v_and_b32_e32 v2, 15, v2
	s_delay_alu instid0(VALU_DEP_1) | instskip(SKIP_3) | instid1(SALU_CYCLE_1)
	v_cmp_eq_u32_e32 vcc_lo, 0, v2
	s_and_b32 s15, s13, vcc_lo
	s_and_not1_b32 s13, s13, exec_lo
	s_and_b32 s15, s15, exec_lo
	s_or_b32 s13, s13, s15
.LBB6_686:                              ;   in Loop: Header=BB6_558 Depth=2
	s_or_b32 exec_lo, exec_lo, s14
	s_xor_b32 s13, s13, -1
	v_alignbit_b32 v8, v69, v69, 1
	v_cndmask_b32_e64 v2, 0, 1, s13
	;;#ASMSTART
	;;#ASMEND
	s_delay_alu instid0(VALU_DEP_1)
	v_cmp_ne_u32_e32 vcc_lo, 0, v2
	s_mov_b32 s13, -1
	s_cbranch_vccz .LBB6_688
; %bb.687:                              ;   in Loop: Header=BB6_558 Depth=2
	v_readfirstlane_b32 s14, v8
	v_readfirstlane_b32 s31, v8
	s_mov_b32 s13, 0
	s_mov_b32 s34, -1
	s_delay_alu instid0(VALU_DEP_2)
	s_and_b32 s30, s14, 0x7fffffff
	s_mov_b32 s14, 0
	s_branch .LBB6_689
.LBB6_688:                              ;   in Loop: Header=BB6_558 Depth=2
	s_mov_b32 s34, 0
                                        ; implicit-def: $sgpr14
                                        ; implicit-def: $sgpr31
                                        ; implicit-def: $sgpr30
.LBB6_689:                              ;   in Loop: Header=BB6_558 Depth=2
	s_and_not1_b32 vcc_lo, exec_lo, s13
	s_cbranch_vccnz .LBB6_705
; %bb.690:                              ;   in Loop: Header=BB6_558 Depth=2
	v_ashrrev_i32_e32 v2, 31, v151
	v_readfirstlane_b32 s13, v8
	v_readfirstlane_b32 s31, v8
	s_mov_b32 s28, exec_lo
	s_delay_alu instid0(VALU_DEP_3) | instskip(NEXT) | instid1(VALU_DEP_3)
	v_lshrrev_b32_e32 v2, 21, v2
	s_and_b32 s30, s13, 0x7fffffff
	s_delay_alu instid0(VALU_DEP_1) | instskip(NEXT) | instid1(VALU_DEP_1)
	v_add_nc_u32_e32 v2, v151, v2
	v_ashrrev_i32_e32 v22, 11, v2
	s_delay_alu instid0(VALU_DEP_1) | instskip(NEXT) | instid1(VALU_DEP_1)
	v_sub_nc_u32_e32 v2, v22, v98
	v_cmpx_lt_i32_e32 0, v2
	s_cbranch_execz .LBB6_695
; %bb.691:                              ;   in Loop: Header=BB6_558 Depth=2
	v_cvt_f32_u32_e32 v8, s30
	s_sub_i32 s14, 0, s30
	s_mov_b32 s29, 0
	s_delay_alu instid0(VALU_DEP_1) | instskip(SKIP_2) | instid1(VALU_DEP_1)
	v_rcp_iflag_f32_e32 v8, v8
	s_waitcnt_depctr 0xfff
	v_mul_f32_e32 v8, 0x4f7ffffe, v8
	v_cvt_u32_f32_e32 v8, v8
	s_delay_alu instid0(VALU_DEP_1) | instskip(NEXT) | instid1(VALU_DEP_1)
	v_readfirstlane_b32 s13, v8
	s_mul_i32 s14, s14, s13
	s_delay_alu instid0(SALU_CYCLE_1) | instskip(NEXT) | instid1(SALU_CYCLE_1)
	s_mul_hi_u32 s14, s13, s14
	s_add_i32 s13, s13, s14
	s_delay_alu instid0(SALU_CYCLE_1) | instskip(NEXT) | instid1(SALU_CYCLE_1)
	s_mul_hi_u32 s13, s13, -1
	s_mul_i32 s14, s13, s30
	s_add_i32 s15, s13, 1
	s_not_b32 s14, s14
	s_delay_alu instid0(SALU_CYCLE_1)
	s_sub_i32 s16, s14, s30
	s_cmp_ge_u32 s14, s30
	s_cselect_b32 s13, s15, s13
	s_cselect_b32 s14, s16, s14
	s_add_i32 s15, s13, 1
	s_cmp_ge_u32 s14, s30
	s_cselect_b32 vcc_hi, s15, s13
	s_cbranch_execnz .LBB6_1768
; %bb.692:                              ;   in Loop: Header=BB6_558 Depth=2
	ds_load_b128 v[8:11], v0
	ds_load_b64 v[12:13], v0
	s_cmp_lt_i32 s31, 0
	s_cselect_b32 s35, -1, 0
	s_waitcnt lgkmcnt(1)
	v_add_co_u32 v16, vcc_lo, v8, v132
	v_add_co_ci_u32_e32 v17, vcc_lo, v9, v133, vcc_lo
	v_add_co_u32 v18, vcc_lo, v10, v132
	v_add_co_ci_u32_e32 v19, vcc_lo, v11, v133, vcc_lo
	s_waitcnt lgkmcnt(0)
	v_add_co_u32 v20, vcc_lo, v12, v132
	v_add_co_ci_u32_e32 v21, vcc_lo, v13, v133, vcc_lo
.LBB6_693:                              ;   Parent Loop BB6_51 Depth=1
                                        ;     Parent Loop BB6_558 Depth=2
                                        ; =>    This Inner Loop Header: Depth=3
	s_clause 0x1
	global_load_b128 v[12:15], v[16:17], off slc dlc
	global_load_b128 v[8:11], v[16:17], off offset:512 slc dlc
	v_sub_nc_u32_e32 v2, v2, v97
	s_waitcnt vmcnt(1)
	v_and_b32_e32 v84, 0xff00ff, v12
	v_and_b32_e32 v85, 0xff00ff00, v12
	v_and_b32_e32 v160, 0xff00ff, v13
	v_and_b32_e32 v161, 0xff00ff00, v13
	v_and_b32_e32 v80, 0xff00ff, v14
	v_and_b32_e32 v81, 0xff00ff00, v14
	v_and_b32_e32 v23, 0xff00ff, v15
	v_and_b32_e32 v69, 0xff00ff00, v15
	s_clause 0x1
	global_load_b128 v[164:167], v[18:19], off slc dlc
	global_load_b128 v[12:15], v[18:19], off offset:512 slc dlc
	s_waitcnt vmcnt(2)
	v_and_b32_e32 v179, 0xff00ff, v8
	v_and_b32_e32 v180, 0xff00ff00, v8
	;; [unrolled: 1-line block ×6, first 2 shown]
	s_waitcnt vmcnt(1)
	v_and_b32_e32 v162, 0xff00ff, v164
	v_and_b32_e32 v163, 0xff00ff00, v164
	;; [unrolled: 1-line block ×3, first 2 shown]
	s_waitcnt vmcnt(0)
	v_and_b32_e32 v183, 0xff00ff, v12
	v_and_b32_e32 v40, 0xff00ff00, v12
	v_add_co_u32 v8, null, v162, v84
	v_and_b32_e32 v41, 0xff00ff, v13
	v_and_b32_e32 v42, 0xff00ff00, v13
	v_and_b32_e32 v12, 0xff00ff, v15
	v_and_b32_e32 v13, 0xff00ff00, v15
	v_add_co_u32 v10, null, v164, v160
	v_bfe_i32 v15, v8, 0, 8
	v_add_nc_u32_e32 v9, v163, v85
	v_and_b32_e32 v82, 0xff00ff, v166
	v_and_b32_e32 v83, 0xff00ff00, v166
	;; [unrolled: 1-line block ×3, first 2 shown]
	v_cmp_gt_i16_e32 vcc_lo, 0, v15
	v_bfe_i32 v15, v10, 0, 8
	v_and_b32_e32 v70, 0xff00ff, v167
	v_and_b32_e32 v71, 0xff00ff00, v167
	v_add_co_u32 v12, null, v12, v166
	s_delay_alu instid0(VALU_DEP_4)
	v_cmp_gt_i16_e64 s13, 0, v15
	v_perm_b32 v15, v9, v8, 0x7020500
	v_and_b32_e32 v165, 0xff00ff00, v165
	v_and_b32_e32 v167, 0xff00ff00, v11
	s_and_b32 vcc_lo, s35, vcc_lo
	s_and_b32 s13, s35, s13
	v_and_b32_e32 v84, 0x8000, v15
	v_add_nc_u32_e32 v11, v165, v161
	v_and_b32_e32 v15, s31, v15
	v_and_b32_e32 v178, 0xff00ff, v14
	;; [unrolled: 1-line block ×3, first 2 shown]
	v_cmp_ne_u32_e64 s14, 0, v84
	v_lshrrev_b32_e32 v84, 16, v8
	v_cmp_lt_i32_e64 s18, -1, v15
	v_add_nc_u32_e32 v13, v13, v167
	v_add_nc_u32_e32 v14, v14, v177
	s_and_b32 s14, s35, s14
	v_bfe_i32 v85, v84, 0, 8
	s_delay_alu instid0(VALU_DEP_1) | instskip(SKIP_1) | instid1(VALU_DEP_2)
	v_cmp_gt_i16_e64 s15, 0, v85
	v_perm_b32 v85, v11, v10, 0x7020500
	s_and_b32 s15, s35, s15
	s_delay_alu instid0(VALU_DEP_1) | instskip(SKIP_1) | instid1(VALU_DEP_2)
	v_and_b32_e32 v160, 0x8000, v85
	v_and_b32_e32 v85, s31, v85
	v_cmp_ne_u32_e64 s16, 0, v160
	v_lshrrev_b32_e32 v160, 16, v10
	s_delay_alu instid0(VALU_DEP_3) | instskip(NEXT) | instid1(VALU_DEP_3)
	v_cmp_lt_i32_e64 s19, -1, v85
	s_and_b32 s16, s35, s16
	s_delay_alu instid0(VALU_DEP_2) | instskip(NEXT) | instid1(VALU_DEP_1)
	v_bfe_i32 v161, v160, 0, 8
	v_cmp_gt_i16_e64 s17, 0, v161
	v_sub_nc_u16 v161, 0, v8
	s_delay_alu instid0(VALU_DEP_2) | instskip(NEXT) | instid1(VALU_DEP_1)
	s_and_b32 s17, s35, s17
	v_cndmask_b32_e32 v8, v8, v161, vcc_lo
	v_sub_nc_u16 v161, 0, v10
	s_delay_alu instid0(VALU_DEP_2) | instskip(NEXT) | instid1(VALU_DEP_2)
	v_and_b32_e32 v8, 0xff, v8
	v_cndmask_b32_e64 v10, v10, v161, s13
	v_lshrrev_b32_e32 v161, 24, v9
	v_lshrrev_b32_e32 v9, 8, v9
	s_delay_alu instid0(VALU_DEP_3) | instskip(NEXT) | instid1(VALU_DEP_3)
	v_and_b32_e32 v10, 0xff, v10
	v_sub_nc_u16 v162, 0, v161
	s_delay_alu instid0(VALU_DEP_1) | instskip(SKIP_2) | instid1(VALU_DEP_3)
	v_cndmask_b32_e64 v15, v162, v161, s18
	v_lshrrev_b32_e32 v161, 24, v11
	v_lshrrev_b32_e32 v11, 8, v11
	v_and_b32_e32 v15, 0xff, v15
	s_delay_alu instid0(VALU_DEP_3) | instskip(NEXT) | instid1(VALU_DEP_1)
	v_sub_nc_u16 v162, 0, v161
	v_cndmask_b32_e64 v85, v162, v161, s19
	v_sub_nc_u16 v161, 0, v9
	s_delay_alu instid0(VALU_DEP_2) | instskip(NEXT) | instid1(VALU_DEP_2)
	v_and_b32_e32 v85, 0xff, v85
	v_cndmask_b32_e64 v9, v9, v161, s14
	v_sub_nc_u16 v161, 0, v84
	s_delay_alu instid0(VALU_DEP_2) | instskip(NEXT) | instid1(VALU_DEP_2)
	v_and_b32_e32 v9, 0xff, v9
	;; [unrolled: 4-line block ×3, first 2 shown]
	v_cndmask_b32_e64 v11, v11, v161, s16
	v_sub_nc_u16 v161, 0, v160
	s_delay_alu instid0(VALU_DEP_1) | instskip(SKIP_1) | instid1(VALU_DEP_2)
	v_cndmask_b32_e64 v160, v160, v161, s17
	v_mul_hi_u32 v161, v8, vcc_hi
	v_and_b32_e32 v160, 0xff, v160
	s_delay_alu instid0(VALU_DEP_2) | instskip(NEXT) | instid1(VALU_DEP_1)
	v_mul_lo_u32 v162, s30, v161
	v_sub_nc_u32_e32 v8, v8, v162
	v_mul_hi_u32 v162, v10, vcc_hi
	s_delay_alu instid0(VALU_DEP_2) | instskip(NEXT) | instid1(VALU_DEP_2)
	v_cmp_le_u32_e64 s23, s30, v8
	v_mul_lo_u32 v163, s30, v162
	s_delay_alu instid0(VALU_DEP_2) | instskip(NEXT) | instid1(VALU_DEP_2)
	v_add_co_ci_u32_e64 v8, s23, 0, v161, s23
	v_sub_nc_u32_e32 v10, v10, v163
	v_mul_hi_u32 v163, v15, vcc_hi
	s_delay_alu instid0(VALU_DEP_2) | instskip(SKIP_1) | instid1(VALU_DEP_3)
	v_cmp_le_u32_e64 s20, s30, v10
	v_and_b32_e32 v10, 0xff, v11
	v_mul_lo_u32 v164, s30, v163
	s_delay_alu instid0(VALU_DEP_2) | instskip(NEXT) | instid1(VALU_DEP_2)
	v_mul_hi_u32 v11, v10, vcc_hi
	v_sub_nc_u32_e32 v15, v15, v164
	v_mul_hi_u32 v164, v85, vcc_hi
	s_delay_alu instid0(VALU_DEP_2) | instskip(NEXT) | instid1(VALU_DEP_2)
	v_cmp_le_u32_e64 s21, s30, v15
	v_mul_lo_u32 v165, s30, v164
	s_delay_alu instid0(VALU_DEP_1) | instskip(SKIP_1) | instid1(VALU_DEP_2)
	v_sub_nc_u32_e32 v85, v85, v165
	v_mul_hi_u32 v165, v9, vcc_hi
	v_cmp_le_u32_e64 s22, s30, v85
	s_delay_alu instid0(VALU_DEP_2) | instskip(NEXT) | instid1(VALU_DEP_1)
	v_mul_lo_u32 v43, s30, v165
	v_sub_nc_u32_e32 v9, v9, v43
	v_mul_hi_u32 v43, v84, vcc_hi
	s_delay_alu instid0(VALU_DEP_2) | instskip(SKIP_1) | instid1(VALU_DEP_3)
	v_cmp_le_u32_e64 s24, s30, v9
	v_sub_nc_u32_e32 v9, 0, v8
	v_mul_lo_u32 v44, s30, v43
	s_delay_alu instid0(VALU_DEP_2) | instskip(SKIP_1) | instid1(VALU_DEP_3)
	v_cndmask_b32_e32 v8, v8, v9, vcc_lo
	v_add_co_ci_u32_e64 v9, vcc_lo, 0, v162, s20
	v_sub_nc_u32_e32 v84, v84, v44
	v_mul_lo_u32 v44, s30, v11
	s_delay_alu instid0(VALU_DEP_2) | instskip(NEXT) | instid1(VALU_DEP_2)
	v_cmp_le_u32_e64 s25, s30, v84
	v_sub_nc_u32_e32 v10, v10, v44
	v_mul_hi_u32 v44, v160, vcc_hi
	s_delay_alu instid0(VALU_DEP_2) | instskip(SKIP_1) | instid1(VALU_DEP_3)
	v_cmp_le_u32_e64 s26, s30, v10
	v_sub_nc_u32_e32 v10, 0, v9
	v_mul_lo_u32 v45, s30, v44
	s_delay_alu instid0(VALU_DEP_3) | instskip(NEXT) | instid1(VALU_DEP_3)
	v_add_co_ci_u32_e64 v11, vcc_lo, 0, v11, s26
	v_cndmask_b32_e64 v9, v9, v10, s13
	v_add_co_ci_u32_e64 v10, vcc_lo, 0, v163, s21
	s_delay_alu instid0(VALU_DEP_4) | instskip(NEXT) | instid1(VALU_DEP_2)
	v_sub_nc_u32_e32 v160, v160, v45
	v_sub_nc_u32_e32 v15, 0, v10
	s_delay_alu instid0(VALU_DEP_2) | instskip(NEXT) | instid1(VALU_DEP_2)
	v_cmp_le_u32_e64 s27, s30, v160
	v_cndmask_b32_e64 v10, v15, v10, s18
	v_add_co_ci_u32_e64 v15, vcc_lo, 0, v164, s22
	s_delay_alu instid0(VALU_DEP_2) | instskip(NEXT) | instid1(VALU_DEP_2)
	v_lshlrev_b32_e32 v10, 24, v10
	v_sub_nc_u32_e32 v84, 0, v15
	s_delay_alu instid0(VALU_DEP_1) | instskip(SKIP_1) | instid1(VALU_DEP_1)
	v_cndmask_b32_e64 v15, v84, v15, s19
	v_add_co_ci_u32_e64 v84, vcc_lo, 0, v165, s24
	v_sub_nc_u32_e32 v85, 0, v84
	s_delay_alu instid0(VALU_DEP_1) | instskip(SKIP_1) | instid1(VALU_DEP_2)
	v_cndmask_b32_e64 v84, v84, v85, s14
	v_add_co_ci_u32_e64 v85, vcc_lo, 0, v43, s25
	v_lshlrev_b32_e32 v84, 8, v84
	s_delay_alu instid0(VALU_DEP_2) | instskip(NEXT) | instid1(VALU_DEP_2)
	v_sub_nc_u32_e32 v160, 0, v85
	v_perm_b32 v8, v84, v8, 0xc0c0500
	s_delay_alu instid0(VALU_DEP_2) | instskip(SKIP_1) | instid1(VALU_DEP_1)
	v_cndmask_b32_e64 v85, v85, v160, s15
	v_sub_nc_u32_e32 v160, 0, v11
	v_cndmask_b32_e64 v11, v11, v160, s16
	v_add_co_ci_u32_e64 v160, vcc_lo, 0, v44, s27
	s_delay_alu instid0(VALU_DEP_2) | instskip(NEXT) | instid1(VALU_DEP_2)
	v_lshlrev_b32_e32 v11, 8, v11
	v_sub_nc_u32_e32 v161, 0, v160
	s_delay_alu instid0(VALU_DEP_2) | instskip(NEXT) | instid1(VALU_DEP_2)
	v_perm_b32 v9, v11, v9, 0xc0c0500
	v_cndmask_b32_e64 v160, v160, v161, s17
	v_lshlrev_b32_e32 v11, 24, v15
	v_and_b32_e32 v15, 0xff, v85
	s_delay_alu instid0(VALU_DEP_3) | instskip(NEXT) | instid1(VALU_DEP_2)
	v_and_b32_e32 v84, 0xff, v160
	v_lshlrev_b32_e32 v15, 16, v15
	s_delay_alu instid0(VALU_DEP_2) | instskip(NEXT) | instid1(VALU_DEP_2)
	v_lshlrev_b32_e32 v84, 16, v84
	v_or3_b32 v8, v10, v15, v8
	v_add_co_u32 v10, null, v82, v80
	s_delay_alu instid0(VALU_DEP_3) | instskip(SKIP_1) | instid1(VALU_DEP_3)
	v_or3_b32 v9, v11, v84, v9
	v_add_nc_u32_e32 v11, v83, v81
	v_bfe_i32 v15, v10, 0, 8
	s_delay_alu instid0(VALU_DEP_1) | instskip(NEXT) | instid1(VALU_DEP_3)
	v_cmp_gt_i16_e32 vcc_lo, 0, v15
	v_perm_b32 v15, v11, v10, 0x7020500
	s_and_b32 vcc_lo, s35, vcc_lo
	s_delay_alu instid0(VALU_DEP_1) | instskip(SKIP_1) | instid1(VALU_DEP_2)
	v_and_b32_e32 v80, 0x8000, v15
	v_and_b32_e32 v15, s31, v15
	v_cmp_ne_u32_e64 s13, 0, v80
	v_lshrrev_b32_e32 v80, 16, v10
	s_delay_alu instid0(VALU_DEP_3) | instskip(NEXT) | instid1(VALU_DEP_3)
	v_cmp_lt_i32_e64 s15, -1, v15
	s_and_b32 s13, s35, s13
	s_delay_alu instid0(VALU_DEP_2) | instskip(NEXT) | instid1(VALU_DEP_1)
	v_bfe_i32 v81, v80, 0, 8
	v_cmp_gt_i16_e64 s14, 0, v81
	v_sub_nc_u16 v81, 0, v10
	s_delay_alu instid0(VALU_DEP_2) | instskip(NEXT) | instid1(VALU_DEP_1)
	s_and_b32 s14, s35, s14
	v_cndmask_b32_e32 v10, v10, v81, vcc_lo
	v_lshrrev_b32_e32 v81, 24, v11
	v_lshrrev_b32_e32 v11, 8, v11
	s_delay_alu instid0(VALU_DEP_3) | instskip(NEXT) | instid1(VALU_DEP_3)
	v_and_b32_e32 v10, 0xff, v10
	v_sub_nc_u16 v82, 0, v81
	s_delay_alu instid0(VALU_DEP_1) | instskip(NEXT) | instid1(VALU_DEP_4)
	v_cndmask_b32_e64 v15, v82, v81, s15
	v_sub_nc_u16 v81, 0, v11
	s_delay_alu instid0(VALU_DEP_2) | instskip(NEXT) | instid1(VALU_DEP_2)
	v_and_b32_e32 v15, 0xff, v15
	v_cndmask_b32_e64 v11, v11, v81, s13
	v_sub_nc_u16 v81, 0, v80
	s_delay_alu instid0(VALU_DEP_2) | instskip(NEXT) | instid1(VALU_DEP_2)
	v_and_b32_e32 v11, 0xff, v11
	v_cndmask_b32_e64 v80, v80, v81, s14
	v_mul_hi_u32 v81, v10, vcc_hi
	s_delay_alu instid0(VALU_DEP_2) | instskip(NEXT) | instid1(VALU_DEP_2)
	v_and_b32_e32 v80, 0xff, v80
	v_mul_lo_u32 v82, s30, v81
	s_delay_alu instid0(VALU_DEP_1) | instskip(SKIP_1) | instid1(VALU_DEP_2)
	v_sub_nc_u32_e32 v10, v10, v82
	v_mul_hi_u32 v82, v15, vcc_hi
	v_cmp_le_u32_e64 s17, s30, v10
	s_delay_alu instid0(VALU_DEP_2) | instskip(NEXT) | instid1(VALU_DEP_2)
	v_mul_lo_u32 v83, s30, v82
	v_add_co_ci_u32_e64 v10, s17, 0, v81, s17
	s_delay_alu instid0(VALU_DEP_2) | instskip(SKIP_1) | instid1(VALU_DEP_2)
	v_sub_nc_u32_e32 v15, v15, v83
	v_mul_hi_u32 v83, v11, vcc_hi
	v_cmp_le_u32_e64 s16, s30, v15
	s_delay_alu instid0(VALU_DEP_2) | instskip(NEXT) | instid1(VALU_DEP_1)
	v_mul_lo_u32 v84, s30, v83
	v_sub_nc_u32_e32 v11, v11, v84
	v_mul_hi_u32 v84, v80, vcc_hi
	s_delay_alu instid0(VALU_DEP_2) | instskip(SKIP_1) | instid1(VALU_DEP_3)
	v_cmp_le_u32_e64 s18, s30, v11
	v_sub_nc_u32_e32 v11, 0, v10
	v_mul_lo_u32 v85, s30, v84
	s_delay_alu instid0(VALU_DEP_2) | instskip(SKIP_1) | instid1(VALU_DEP_1)
	v_cndmask_b32_e32 v10, v10, v11, vcc_lo
	v_add_co_ci_u32_e64 v11, vcc_lo, 0, v82, s16
	v_sub_nc_u32_e32 v15, 0, v11
	s_delay_alu instid0(VALU_DEP_4) | instskip(NEXT) | instid1(VALU_DEP_2)
	v_sub_nc_u32_e32 v80, v80, v85
	v_cndmask_b32_e64 v11, v15, v11, s15
	v_add_co_ci_u32_e64 v15, vcc_lo, 0, v83, s18
	s_delay_alu instid0(VALU_DEP_3) | instskip(NEXT) | instid1(VALU_DEP_3)
	v_cmp_le_u32_e64 s19, s30, v80
	v_lshlrev_b32_e32 v11, 24, v11
	s_delay_alu instid0(VALU_DEP_3) | instskip(NEXT) | instid1(VALU_DEP_1)
	v_sub_nc_u32_e32 v80, 0, v15
	v_cndmask_b32_e64 v15, v15, v80, s13
	s_delay_alu instid0(VALU_DEP_4) | instskip(NEXT) | instid1(VALU_DEP_2)
	v_add_co_ci_u32_e64 v80, vcc_lo, 0, v84, s19
	v_lshlrev_b32_e32 v15, 8, v15
	s_delay_alu instid0(VALU_DEP_2) | instskip(NEXT) | instid1(VALU_DEP_2)
	v_sub_nc_u32_e32 v81, 0, v80
	v_perm_b32 v10, v15, v10, 0xc0c0500
	s_delay_alu instid0(VALU_DEP_2) | instskip(NEXT) | instid1(VALU_DEP_1)
	v_cndmask_b32_e64 v80, v80, v81, s14
	v_and_b32_e32 v15, 0xff, v80
	s_delay_alu instid0(VALU_DEP_1) | instskip(NEXT) | instid1(VALU_DEP_1)
	v_lshlrev_b32_e32 v15, 16, v15
	v_or3_b32 v10, v11, v15, v10
	v_add_co_u32 v11, null, v70, v23
	v_add_nc_u32_e32 v15, v71, v69
	s_delay_alu instid0(VALU_DEP_2) | instskip(NEXT) | instid1(VALU_DEP_1)
	v_bfe_i32 v23, v11, 0, 8
	v_cmp_gt_i16_e32 vcc_lo, 0, v23
	s_delay_alu instid0(VALU_DEP_3) | instskip(SKIP_1) | instid1(VALU_DEP_1)
	v_perm_b32 v23, v15, v11, 0x7020500
	s_and_b32 vcc_lo, s35, vcc_lo
	v_and_b32_e32 v69, 0x8000, v23
	v_and_b32_e32 v23, s31, v23
	s_delay_alu instid0(VALU_DEP_2) | instskip(SKIP_1) | instid1(VALU_DEP_3)
	v_cmp_ne_u32_e64 s13, 0, v69
	v_lshrrev_b32_e32 v69, 16, v11
	v_cmp_lt_i32_e64 s15, -1, v23
	s_delay_alu instid0(VALU_DEP_3) | instskip(NEXT) | instid1(VALU_DEP_2)
	s_and_b32 s13, s35, s13
	v_bfe_i32 v70, v69, 0, 8
	s_delay_alu instid0(VALU_DEP_1) | instskip(SKIP_1) | instid1(VALU_DEP_2)
	v_cmp_gt_i16_e64 s14, 0, v70
	v_sub_nc_u16 v70, 0, v11
	s_and_b32 s14, s35, s14
	s_delay_alu instid0(VALU_DEP_1) | instskip(SKIP_2) | instid1(VALU_DEP_3)
	v_cndmask_b32_e32 v11, v11, v70, vcc_lo
	v_lshrrev_b32_e32 v70, 24, v15
	v_lshrrev_b32_e32 v15, 8, v15
	v_and_b32_e32 v11, 0xff, v11
	s_delay_alu instid0(VALU_DEP_3) | instskip(NEXT) | instid1(VALU_DEP_1)
	v_sub_nc_u16 v71, 0, v70
	v_cndmask_b32_e64 v23, v71, v70, s15
	s_delay_alu instid0(VALU_DEP_4) | instskip(NEXT) | instid1(VALU_DEP_2)
	v_sub_nc_u16 v70, 0, v15
	v_and_b32_e32 v23, 0xff, v23
	s_delay_alu instid0(VALU_DEP_2) | instskip(SKIP_1) | instid1(VALU_DEP_2)
	v_cndmask_b32_e64 v15, v15, v70, s13
	v_sub_nc_u16 v70, 0, v69
	v_and_b32_e32 v15, 0xff, v15
	s_delay_alu instid0(VALU_DEP_2) | instskip(SKIP_1) | instid1(VALU_DEP_2)
	v_cndmask_b32_e64 v69, v69, v70, s14
	v_mul_hi_u32 v70, v11, vcc_hi
	v_and_b32_e32 v69, 0xff, v69
	s_delay_alu instid0(VALU_DEP_2) | instskip(NEXT) | instid1(VALU_DEP_1)
	v_mul_lo_u32 v71, s30, v70
	v_sub_nc_u32_e32 v11, v11, v71
	v_mul_hi_u32 v71, v23, vcc_hi
	s_delay_alu instid0(VALU_DEP_2) | instskip(NEXT) | instid1(VALU_DEP_2)
	v_cmp_le_u32_e64 s17, s30, v11
	v_mul_lo_u32 v80, s30, v71
	s_delay_alu instid0(VALU_DEP_2) | instskip(NEXT) | instid1(VALU_DEP_2)
	v_add_co_ci_u32_e64 v11, s17, 0, v70, s17
	v_sub_nc_u32_e32 v23, v23, v80
	v_mul_hi_u32 v80, v15, vcc_hi
	s_delay_alu instid0(VALU_DEP_2) | instskip(NEXT) | instid1(VALU_DEP_2)
	v_cmp_le_u32_e64 s16, s30, v23
	v_mul_lo_u32 v81, s30, v80
	s_delay_alu instid0(VALU_DEP_1) | instskip(SKIP_1) | instid1(VALU_DEP_2)
	v_sub_nc_u32_e32 v15, v15, v81
	v_mul_hi_u32 v81, v69, vcc_hi
	v_cmp_le_u32_e64 s18, s30, v15
	v_sub_nc_u32_e32 v15, 0, v11
	s_delay_alu instid0(VALU_DEP_3) | instskip(NEXT) | instid1(VALU_DEP_2)
	v_mul_lo_u32 v82, s30, v81
	v_cndmask_b32_e32 v11, v11, v15, vcc_lo
	v_add_co_ci_u32_e64 v15, vcc_lo, 0, v71, s16
	s_delay_alu instid0(VALU_DEP_1) | instskip(NEXT) | instid1(VALU_DEP_4)
	v_sub_nc_u32_e32 v23, 0, v15
	v_sub_nc_u32_e32 v69, v69, v82
	s_delay_alu instid0(VALU_DEP_2) | instskip(SKIP_1) | instid1(VALU_DEP_3)
	v_cndmask_b32_e64 v15, v23, v15, s15
	v_add_co_ci_u32_e64 v23, vcc_lo, 0, v80, s18
	v_cmp_le_u32_e64 s19, s30, v69
	s_delay_alu instid0(VALU_DEP_3) | instskip(NEXT) | instid1(VALU_DEP_3)
	v_lshlrev_b32_e32 v15, 24, v15
	v_sub_nc_u32_e32 v69, 0, v23
	s_delay_alu instid0(VALU_DEP_1) | instskip(NEXT) | instid1(VALU_DEP_4)
	v_cndmask_b32_e64 v23, v23, v69, s13
	v_add_co_ci_u32_e64 v69, vcc_lo, 0, v81, s19
	s_delay_alu instid0(VALU_DEP_2) | instskip(NEXT) | instid1(VALU_DEP_2)
	v_lshlrev_b32_e32 v23, 8, v23
	v_sub_nc_u32_e32 v70, 0, v69
	s_delay_alu instid0(VALU_DEP_2) | instskip(NEXT) | instid1(VALU_DEP_2)
	v_perm_b32 v11, v23, v11, 0xc0c0500
	v_cndmask_b32_e64 v69, v69, v70, s14
	v_add_nc_u32_e32 v70, v42, v182
	s_delay_alu instid0(VALU_DEP_2) | instskip(SKIP_1) | instid1(VALU_DEP_2)
	v_and_b32_e32 v23, 0xff, v69
	v_add_co_u32 v69, null, v41, v181
	v_lshlrev_b32_e32 v23, 16, v23
	s_delay_alu instid0(VALU_DEP_1) | instskip(SKIP_2) | instid1(VALU_DEP_2)
	v_or3_b32 v11, v15, v23, v11
	v_add_co_u32 v15, null, v183, v179
	v_add_nc_u32_e32 v23, v40, v180
	v_bfe_i32 v71, v15, 0, 8
	s_delay_alu instid0(VALU_DEP_1) | instskip(SKIP_2) | instid1(VALU_DEP_1)
	v_cmp_gt_i16_e32 vcc_lo, 0, v71
	v_bfe_i32 v71, v69, 0, 8
	s_and_b32 vcc_lo, s35, vcc_lo
	v_cmp_gt_i16_e64 s13, 0, v71
	v_perm_b32 v71, v23, v15, 0x7020500
	s_delay_alu instid0(VALU_DEP_2) | instskip(NEXT) | instid1(VALU_DEP_1)
	s_and_b32 s13, s35, s13
	v_and_b32_e32 v80, 0x8000, v71
	v_and_b32_e32 v71, s31, v71
	s_delay_alu instid0(VALU_DEP_2) | instskip(SKIP_1) | instid1(VALU_DEP_3)
	v_cmp_ne_u32_e64 s14, 0, v80
	v_lshrrev_b32_e32 v80, 16, v15
	v_cmp_lt_i32_e64 s18, -1, v71
	s_delay_alu instid0(VALU_DEP_3) | instskip(NEXT) | instid1(VALU_DEP_2)
	s_and_b32 s14, s35, s14
	v_bfe_i32 v81, v80, 0, 8
	s_delay_alu instid0(VALU_DEP_1) | instskip(SKIP_1) | instid1(VALU_DEP_2)
	v_cmp_gt_i16_e64 s15, 0, v81
	v_perm_b32 v81, v70, v69, 0x7020500
	s_and_b32 s15, s35, s15
	s_delay_alu instid0(VALU_DEP_1) | instskip(SKIP_1) | instid1(VALU_DEP_2)
	v_and_b32_e32 v82, 0x8000, v81
	v_and_b32_e32 v81, s31, v81
	v_cmp_ne_u32_e64 s16, 0, v82
	v_lshrrev_b32_e32 v82, 16, v69
	s_delay_alu instid0(VALU_DEP_3) | instskip(NEXT) | instid1(VALU_DEP_3)
	v_cmp_lt_i32_e64 s19, -1, v81
	s_and_b32 s16, s35, s16
	s_delay_alu instid0(VALU_DEP_2) | instskip(NEXT) | instid1(VALU_DEP_1)
	v_bfe_i32 v83, v82, 0, 8
	v_cmp_gt_i16_e64 s17, 0, v83
	v_sub_nc_u16 v83, 0, v15
	s_delay_alu instid0(VALU_DEP_2) | instskip(NEXT) | instid1(VALU_DEP_1)
	s_and_b32 s17, s35, s17
	v_cndmask_b32_e32 v15, v15, v83, vcc_lo
	v_sub_nc_u16 v83, 0, v69
	s_delay_alu instid0(VALU_DEP_2) | instskip(NEXT) | instid1(VALU_DEP_2)
	v_and_b32_e32 v15, 0xff, v15
	v_cndmask_b32_e64 v69, v69, v83, s13
	v_lshrrev_b32_e32 v83, 24, v23
	v_lshrrev_b32_e32 v23, 8, v23
	s_delay_alu instid0(VALU_DEP_3) | instskip(NEXT) | instid1(VALU_DEP_3)
	v_and_b32_e32 v69, 0xff, v69
	v_sub_nc_u16 v84, 0, v83
	s_delay_alu instid0(VALU_DEP_1) | instskip(SKIP_2) | instid1(VALU_DEP_3)
	v_cndmask_b32_e64 v71, v84, v83, s18
	v_lshrrev_b32_e32 v83, 24, v70
	v_lshrrev_b32_e32 v70, 8, v70
	v_and_b32_e32 v71, 0xff, v71
	s_delay_alu instid0(VALU_DEP_3) | instskip(NEXT) | instid1(VALU_DEP_1)
	v_sub_nc_u16 v84, 0, v83
	v_cndmask_b32_e64 v81, v84, v83, s19
	v_sub_nc_u16 v83, 0, v23
	s_delay_alu instid0(VALU_DEP_2) | instskip(NEXT) | instid1(VALU_DEP_2)
	v_and_b32_e32 v81, 0xff, v81
	v_cndmask_b32_e64 v23, v23, v83, s14
	v_sub_nc_u16 v83, 0, v80
	s_delay_alu instid0(VALU_DEP_2) | instskip(NEXT) | instid1(VALU_DEP_2)
	v_and_b32_e32 v23, 0xff, v23
	;; [unrolled: 4-line block ×3, first 2 shown]
	v_cndmask_b32_e64 v70, v70, v83, s16
	v_sub_nc_u16 v83, 0, v82
	s_delay_alu instid0(VALU_DEP_1) | instskip(SKIP_1) | instid1(VALU_DEP_2)
	v_cndmask_b32_e64 v82, v82, v83, s17
	v_mul_hi_u32 v83, v15, vcc_hi
	v_and_b32_e32 v82, 0xff, v82
	s_delay_alu instid0(VALU_DEP_2) | instskip(NEXT) | instid1(VALU_DEP_1)
	v_mul_lo_u32 v84, s30, v83
	v_sub_nc_u32_e32 v15, v15, v84
	v_mul_hi_u32 v84, v69, vcc_hi
	s_delay_alu instid0(VALU_DEP_2) | instskip(NEXT) | instid1(VALU_DEP_2)
	v_cmp_le_u32_e64 s23, s30, v15
	v_mul_lo_u32 v85, s30, v84
	s_delay_alu instid0(VALU_DEP_2) | instskip(NEXT) | instid1(VALU_DEP_2)
	v_add_co_ci_u32_e64 v15, s23, 0, v83, s23
	v_sub_nc_u32_e32 v69, v69, v85
	v_mul_hi_u32 v85, v71, vcc_hi
	s_delay_alu instid0(VALU_DEP_2) | instskip(SKIP_1) | instid1(VALU_DEP_3)
	v_cmp_le_u32_e64 s20, s30, v69
	v_and_b32_e32 v69, 0xff, v70
	v_mul_lo_u32 v160, s30, v85
	s_delay_alu instid0(VALU_DEP_2) | instskip(NEXT) | instid1(VALU_DEP_2)
	v_mul_hi_u32 v70, v69, vcc_hi
	v_sub_nc_u32_e32 v71, v71, v160
	v_mul_hi_u32 v160, v81, vcc_hi
	s_delay_alu instid0(VALU_DEP_2) | instskip(NEXT) | instid1(VALU_DEP_2)
	v_cmp_le_u32_e64 s21, s30, v71
	v_mul_lo_u32 v161, s30, v160
	s_delay_alu instid0(VALU_DEP_1) | instskip(SKIP_1) | instid1(VALU_DEP_2)
	v_sub_nc_u32_e32 v81, v81, v161
	v_mul_hi_u32 v161, v23, vcc_hi
	v_cmp_le_u32_e64 s22, s30, v81
	s_delay_alu instid0(VALU_DEP_2) | instskip(NEXT) | instid1(VALU_DEP_1)
	v_mul_lo_u32 v162, s30, v161
	v_sub_nc_u32_e32 v23, v23, v162
	v_mul_hi_u32 v162, v80, vcc_hi
	s_delay_alu instid0(VALU_DEP_2) | instskip(SKIP_1) | instid1(VALU_DEP_3)
	v_cmp_le_u32_e64 s24, s30, v23
	v_sub_nc_u32_e32 v23, 0, v15
	v_mul_lo_u32 v163, s30, v162
	s_delay_alu instid0(VALU_DEP_2) | instskip(SKIP_1) | instid1(VALU_DEP_3)
	v_cndmask_b32_e32 v15, v15, v23, vcc_lo
	v_add_co_ci_u32_e64 v23, vcc_lo, 0, v84, s20
	v_sub_nc_u32_e32 v80, v80, v163
	v_mul_lo_u32 v163, s30, v70
	s_delay_alu instid0(VALU_DEP_2) | instskip(NEXT) | instid1(VALU_DEP_2)
	v_cmp_le_u32_e64 s25, s30, v80
	v_sub_nc_u32_e32 v69, v69, v163
	v_mul_hi_u32 v163, v82, vcc_hi
	s_delay_alu instid0(VALU_DEP_2) | instskip(SKIP_1) | instid1(VALU_DEP_3)
	v_cmp_le_u32_e64 s26, s30, v69
	v_sub_nc_u32_e32 v69, 0, v23
	v_mul_lo_u32 v164, s30, v163
	s_delay_alu instid0(VALU_DEP_3) | instskip(NEXT) | instid1(VALU_DEP_3)
	v_add_co_ci_u32_e64 v70, vcc_lo, 0, v70, s26
	v_cndmask_b32_e64 v23, v23, v69, s13
	v_add_co_ci_u32_e64 v69, vcc_lo, 0, v85, s21
	s_delay_alu instid0(VALU_DEP_4) | instskip(NEXT) | instid1(VALU_DEP_2)
	v_sub_nc_u32_e32 v82, v82, v164
	v_sub_nc_u32_e32 v71, 0, v69
	s_delay_alu instid0(VALU_DEP_2) | instskip(NEXT) | instid1(VALU_DEP_2)
	v_cmp_le_u32_e64 s27, s30, v82
	v_cndmask_b32_e64 v69, v71, v69, s18
	v_add_co_ci_u32_e64 v71, vcc_lo, 0, v160, s22
	s_delay_alu instid0(VALU_DEP_2) | instskip(NEXT) | instid1(VALU_DEP_2)
	v_lshlrev_b32_e32 v69, 24, v69
	v_sub_nc_u32_e32 v80, 0, v71
	s_delay_alu instid0(VALU_DEP_1) | instskip(SKIP_1) | instid1(VALU_DEP_1)
	v_cndmask_b32_e64 v71, v80, v71, s19
	v_add_co_ci_u32_e64 v80, vcc_lo, 0, v161, s24
	v_sub_nc_u32_e32 v81, 0, v80
	s_delay_alu instid0(VALU_DEP_1) | instskip(SKIP_1) | instid1(VALU_DEP_2)
	v_cndmask_b32_e64 v80, v80, v81, s14
	v_add_co_ci_u32_e64 v81, vcc_lo, 0, v162, s25
	v_lshlrev_b32_e32 v80, 8, v80
	s_delay_alu instid0(VALU_DEP_2) | instskip(NEXT) | instid1(VALU_DEP_2)
	v_sub_nc_u32_e32 v82, 0, v81
	v_perm_b32 v15, v80, v15, 0xc0c0500
	s_delay_alu instid0(VALU_DEP_2) | instskip(SKIP_1) | instid1(VALU_DEP_1)
	v_cndmask_b32_e64 v81, v81, v82, s15
	v_sub_nc_u32_e32 v82, 0, v70
	v_cndmask_b32_e64 v70, v70, v82, s16
	v_add_co_ci_u32_e64 v82, vcc_lo, 0, v163, s27
	s_delay_alu instid0(VALU_DEP_2) | instskip(NEXT) | instid1(VALU_DEP_2)
	v_lshlrev_b32_e32 v70, 8, v70
	v_sub_nc_u32_e32 v83, 0, v82
	s_delay_alu instid0(VALU_DEP_2) | instskip(NEXT) | instid1(VALU_DEP_2)
	v_perm_b32 v23, v70, v23, 0xc0c0500
	v_cndmask_b32_e64 v82, v82, v83, s17
	v_lshlrev_b32_e32 v70, 24, v71
	v_and_b32_e32 v71, 0xff, v81
	s_delay_alu instid0(VALU_DEP_3) | instskip(NEXT) | instid1(VALU_DEP_2)
	v_and_b32_e32 v80, 0xff, v82
	v_lshlrev_b32_e32 v71, 16, v71
	s_delay_alu instid0(VALU_DEP_2) | instskip(NEXT) | instid1(VALU_DEP_2)
	v_lshlrev_b32_e32 v81, 16, v80
	v_or3_b32 v80, v69, v71, v15
	v_add_co_u32 v15, null, v178, v176
	s_delay_alu instid0(VALU_DEP_3) | instskip(NEXT) | instid1(VALU_DEP_2)
	v_or3_b32 v81, v70, v81, v23
	v_bfe_i32 v23, v15, 0, 8
	s_delay_alu instid0(VALU_DEP_1) | instskip(SKIP_2) | instid1(VALU_DEP_1)
	v_cmp_gt_i16_e32 vcc_lo, 0, v23
	v_perm_b32 v23, v14, v15, 0x7020500
	s_and_b32 vcc_lo, s35, vcc_lo
	v_and_b32_e32 v69, 0x8000, v23
	v_and_b32_e32 v23, s31, v23
	s_delay_alu instid0(VALU_DEP_2) | instskip(SKIP_1) | instid1(VALU_DEP_3)
	v_cmp_ne_u32_e64 s13, 0, v69
	v_lshrrev_b32_e32 v69, 16, v15
	v_cmp_lt_i32_e64 s15, -1, v23
	s_delay_alu instid0(VALU_DEP_3) | instskip(NEXT) | instid1(VALU_DEP_2)
	s_and_b32 s13, s35, s13
	v_bfe_i32 v70, v69, 0, 8
	s_delay_alu instid0(VALU_DEP_1) | instskip(SKIP_1) | instid1(VALU_DEP_2)
	v_cmp_gt_i16_e64 s14, 0, v70
	v_sub_nc_u16 v70, 0, v15
	s_and_b32 s14, s35, s14
	s_delay_alu instid0(VALU_DEP_1) | instskip(SKIP_2) | instid1(VALU_DEP_3)
	v_cndmask_b32_e32 v15, v15, v70, vcc_lo
	v_lshrrev_b32_e32 v70, 24, v14
	v_lshrrev_b32_e32 v14, 8, v14
	v_and_b32_e32 v15, 0xff, v15
	s_delay_alu instid0(VALU_DEP_3) | instskip(NEXT) | instid1(VALU_DEP_1)
	v_sub_nc_u16 v71, 0, v70
	v_cndmask_b32_e64 v23, v71, v70, s15
	s_delay_alu instid0(VALU_DEP_4) | instskip(NEXT) | instid1(VALU_DEP_2)
	v_sub_nc_u16 v70, 0, v14
	v_and_b32_e32 v23, 0xff, v23
	s_delay_alu instid0(VALU_DEP_2) | instskip(SKIP_1) | instid1(VALU_DEP_2)
	v_cndmask_b32_e64 v14, v14, v70, s13
	v_sub_nc_u16 v70, 0, v69
	v_and_b32_e32 v14, 0xff, v14
	s_delay_alu instid0(VALU_DEP_2) | instskip(SKIP_1) | instid1(VALU_DEP_2)
	v_cndmask_b32_e64 v69, v69, v70, s14
	v_mul_hi_u32 v70, v15, vcc_hi
	v_and_b32_e32 v69, 0xff, v69
	s_delay_alu instid0(VALU_DEP_2) | instskip(NEXT) | instid1(VALU_DEP_1)
	v_mul_lo_u32 v71, s30, v70
	v_sub_nc_u32_e32 v15, v15, v71
	v_mul_hi_u32 v71, v23, vcc_hi
	s_delay_alu instid0(VALU_DEP_2) | instskip(NEXT) | instid1(VALU_DEP_2)
	v_cmp_le_u32_e64 s17, s30, v15
	v_mul_lo_u32 v82, s30, v71
	s_delay_alu instid0(VALU_DEP_1) | instskip(SKIP_1) | instid1(VALU_DEP_2)
	v_sub_nc_u32_e32 v23, v23, v82
	v_mul_hi_u32 v82, v14, vcc_hi
	v_cmp_le_u32_e64 s16, s30, v23
	s_delay_alu instid0(VALU_DEP_2) | instskip(NEXT) | instid1(VALU_DEP_1)
	v_mul_lo_u32 v83, s30, v82
	v_sub_nc_u32_e32 v14, v14, v83
	v_mul_hi_u32 v83, v69, vcc_hi
	s_delay_alu instid0(VALU_DEP_2) | instskip(SKIP_1) | instid1(VALU_DEP_3)
	v_cmp_le_u32_e64 s18, s30, v14
	v_add_co_ci_u32_e64 v14, s17, 0, v70, s17
	v_mul_lo_u32 v84, s30, v83
	s_delay_alu instid0(VALU_DEP_2) | instskip(NEXT) | instid1(VALU_DEP_1)
	v_sub_nc_u32_e32 v15, 0, v14
	v_cndmask_b32_e32 v14, v14, v15, vcc_lo
	v_add_co_ci_u32_e64 v15, vcc_lo, 0, v71, s16
	s_delay_alu instid0(VALU_DEP_4) | instskip(NEXT) | instid1(VALU_DEP_2)
	v_sub_nc_u32_e32 v69, v69, v84
	v_sub_nc_u32_e32 v23, 0, v15
	s_delay_alu instid0(VALU_DEP_2) | instskip(NEXT) | instid1(VALU_DEP_2)
	v_cmp_le_u32_e64 s19, s30, v69
	v_cndmask_b32_e64 v15, v23, v15, s15
	v_add_co_ci_u32_e64 v23, vcc_lo, 0, v82, s18
	s_delay_alu instid0(VALU_DEP_2) | instskip(NEXT) | instid1(VALU_DEP_2)
	v_lshlrev_b32_e32 v15, 24, v15
	v_sub_nc_u32_e32 v69, 0, v23
	s_delay_alu instid0(VALU_DEP_1) | instskip(SKIP_1) | instid1(VALU_DEP_2)
	v_cndmask_b32_e64 v23, v23, v69, s13
	v_add_co_ci_u32_e64 v69, vcc_lo, 0, v83, s19
	v_lshlrev_b32_e32 v23, 8, v23
	s_delay_alu instid0(VALU_DEP_2) | instskip(NEXT) | instid1(VALU_DEP_2)
	v_sub_nc_u32_e32 v70, 0, v69
	v_perm_b32 v14, v23, v14, 0xc0c0500
	s_delay_alu instid0(VALU_DEP_2) | instskip(NEXT) | instid1(VALU_DEP_1)
	v_cndmask_b32_e64 v69, v69, v70, s14
	v_and_b32_e32 v23, 0xff, v69
	s_delay_alu instid0(VALU_DEP_1) | instskip(NEXT) | instid1(VALU_DEP_1)
	v_lshlrev_b32_e32 v23, 16, v23
	v_or3_b32 v82, v15, v23, v14
	v_bfe_i32 v14, v12, 0, 8
	s_delay_alu instid0(VALU_DEP_1) | instskip(SKIP_2) | instid1(VALU_DEP_1)
	v_cmp_gt_i16_e32 vcc_lo, 0, v14
	v_perm_b32 v14, v13, v12, 0x7020500
	s_and_b32 vcc_lo, s35, vcc_lo
	v_and_b32_e32 v15, 0x8000, v14
	v_and_b32_e32 v14, s31, v14
	s_delay_alu instid0(VALU_DEP_2) | instskip(SKIP_1) | instid1(VALU_DEP_3)
	v_cmp_ne_u32_e64 s13, 0, v15
	v_lshrrev_b32_e32 v15, 16, v12
	v_cmp_lt_i32_e64 s15, -1, v14
	s_delay_alu instid0(VALU_DEP_3) | instskip(NEXT) | instid1(VALU_DEP_2)
	s_and_b32 s13, s35, s13
	v_bfe_i32 v23, v15, 0, 8
	s_delay_alu instid0(VALU_DEP_1) | instskip(SKIP_1) | instid1(VALU_DEP_2)
	v_cmp_gt_i16_e64 s14, 0, v23
	v_sub_nc_u16 v23, 0, v12
	s_and_b32 s14, s35, s14
	s_delay_alu instid0(VALU_DEP_1) | instskip(SKIP_2) | instid1(VALU_DEP_3)
	v_cndmask_b32_e32 v12, v12, v23, vcc_lo
	v_lshrrev_b32_e32 v23, 24, v13
	v_lshrrev_b32_e32 v13, 8, v13
	v_and_b32_e32 v12, 0xff, v12
	s_delay_alu instid0(VALU_DEP_3) | instskip(NEXT) | instid1(VALU_DEP_1)
	v_sub_nc_u16 v69, 0, v23
	v_cndmask_b32_e64 v14, v69, v23, s15
	s_delay_alu instid0(VALU_DEP_4) | instskip(NEXT) | instid1(VALU_DEP_2)
	v_sub_nc_u16 v23, 0, v13
	v_and_b32_e32 v14, 0xff, v14
	s_delay_alu instid0(VALU_DEP_2) | instskip(SKIP_1) | instid1(VALU_DEP_2)
	v_cndmask_b32_e64 v13, v13, v23, s13
	v_sub_nc_u16 v23, 0, v15
	v_and_b32_e32 v13, 0xff, v13
	s_delay_alu instid0(VALU_DEP_2) | instskip(SKIP_1) | instid1(VALU_DEP_2)
	v_cndmask_b32_e64 v15, v15, v23, s14
	v_mul_hi_u32 v23, v12, vcc_hi
	v_and_b32_e32 v15, 0xff, v15
	s_delay_alu instid0(VALU_DEP_2) | instskip(NEXT) | instid1(VALU_DEP_1)
	v_mul_lo_u32 v69, s30, v23
	v_sub_nc_u32_e32 v12, v12, v69
	v_mul_hi_u32 v69, v14, vcc_hi
	s_delay_alu instid0(VALU_DEP_2) | instskip(NEXT) | instid1(VALU_DEP_2)
	v_cmp_le_u32_e64 s17, s30, v12
	v_mul_lo_u32 v70, s30, v69
	s_delay_alu instid0(VALU_DEP_2) | instskip(NEXT) | instid1(VALU_DEP_2)
	v_add_co_ci_u32_e64 v12, s17, 0, v23, s17
	v_sub_nc_u32_e32 v14, v14, v70
	v_mul_hi_u32 v70, v13, vcc_hi
	s_delay_alu instid0(VALU_DEP_2) | instskip(NEXT) | instid1(VALU_DEP_2)
	v_cmp_le_u32_e64 s16, s30, v14
	v_mul_lo_u32 v71, s30, v70
	s_delay_alu instid0(VALU_DEP_1) | instskip(SKIP_1) | instid1(VALU_DEP_2)
	v_sub_nc_u32_e32 v13, v13, v71
	v_mul_hi_u32 v71, v15, vcc_hi
	v_cmp_le_u32_e64 s18, s30, v13
	v_sub_nc_u32_e32 v13, 0, v12
	s_delay_alu instid0(VALU_DEP_3) | instskip(NEXT) | instid1(VALU_DEP_2)
	v_mul_lo_u32 v83, s30, v71
	v_cndmask_b32_e32 v12, v12, v13, vcc_lo
	v_add_co_ci_u32_e64 v13, vcc_lo, 0, v69, s16
	s_delay_alu instid0(VALU_DEP_1) | instskip(NEXT) | instid1(VALU_DEP_4)
	v_sub_nc_u32_e32 v14, 0, v13
	v_sub_nc_u32_e32 v15, v15, v83
	s_delay_alu instid0(VALU_DEP_2) | instskip(SKIP_1) | instid1(VALU_DEP_3)
	v_cndmask_b32_e64 v13, v14, v13, s15
	v_add_co_ci_u32_e64 v14, vcc_lo, 0, v70, s18
	v_cmp_le_u32_e64 s19, s30, v15
	s_delay_alu instid0(VALU_DEP_3) | instskip(NEXT) | instid1(VALU_DEP_3)
	v_lshlrev_b32_e32 v13, 24, v13
	v_sub_nc_u32_e32 v15, 0, v14
	s_delay_alu instid0(VALU_DEP_1) | instskip(NEXT) | instid1(VALU_DEP_4)
	v_cndmask_b32_e64 v14, v14, v15, s13
	v_add_co_ci_u32_e64 v15, vcc_lo, 0, v71, s19
	s_delay_alu instid0(VALU_DEP_2) | instskip(NEXT) | instid1(VALU_DEP_2)
	v_lshlrev_b32_e32 v14, 8, v14
	v_sub_nc_u32_e32 v23, 0, v15
	s_delay_alu instid0(VALU_DEP_2) | instskip(NEXT) | instid1(VALU_DEP_2)
	v_perm_b32 v12, v14, v12, 0xc0c0500
	v_cndmask_b32_e64 v15, v15, v23, s14
	s_delay_alu instid0(VALU_DEP_1) | instskip(NEXT) | instid1(VALU_DEP_1)
	v_and_b32_e32 v14, 0xff, v15
	v_lshlrev_b32_e32 v14, 16, v14
	s_delay_alu instid0(VALU_DEP_1)
	v_or3_b32 v83, v13, v14, v12
	global_load_b128 v[12:15], v[16:17], off offset:1024 slc dlc
	global_load_b128 v[160:163], v[18:19], off offset:1024 slc dlc
	;; [unrolled: 1-line block ×4, first 2 shown]
	s_clause 0x1
	global_store_b128 v[20:21], v[8:11], off glc slc dlc
	global_store_b128 v[20:21], v[80:83], off offset:512 glc slc dlc
	s_waitcnt vmcnt(3)
	v_and_b32_e32 v8, 0xff00ff, v12
	s_waitcnt vmcnt(2)
	v_and_b32_e32 v182, 0xff00ff, v160
	v_and_b32_e32 v9, 0xff00ff00, v12
	;; [unrolled: 1-line block ×5, first 2 shown]
	v_add_co_u32 v8, null, v182, v8
	s_waitcnt vmcnt(0)
	v_and_b32_e32 v84, 0xff00ff, v178
	v_and_b32_e32 v85, 0xff00ff00, v178
	v_add_nc_u32_e32 v9, v160, v9
	v_add_co_u32 v160, null, v183, v180
	v_bfe_i32 v178, v8, 0, 8
	v_and_b32_e32 v69, 0xff00ff, v179
	v_and_b32_e32 v70, 0xff00ff00, v179
	v_and_b32_e32 v181, 0xff00ff00, v13
	v_and_b32_e32 v161, 0xff00ff00, v161
	v_cmp_gt_i16_e64 vcc_lo, 0, v178
	v_bfe_i32 v178, v160, 0, 8
	v_and_b32_e32 v10, 0xff00ff, v14
	v_and_b32_e32 v82, 0xff00ff, v162
	v_add_nc_u32_e32 v161, v161, v181
	s_and_b32 vcc_lo, s35, vcc_lo
	v_cmp_gt_i16_e64 s13, 0, v178
	v_perm_b32 v178, v9, v8, 0x7020500
	v_and_b32_e32 v71, 0xff00ff00, v14
	v_and_b32_e32 v83, 0xff00ff00, v162
	v_add_co_u32 v10, null, v82, v10
	s_delay_alu instid0(VALU_DEP_4)
	v_and_b32_e32 v179, 0x8000, v178
	s_and_b32 s13, s35, s13
	v_and_b32_e32 v178, s31, v178
	v_add_nc_u32_e32 v71, v83, v71
	v_bfe_i32 v82, v10, 0, 8
	v_cmp_ne_u32_e64 s14, 0, v179
	v_lshrrev_b32_e32 v179, 16, v8
	v_cmp_lt_i32_e64 s18, -1, v178
	v_and_b32_e32 v11, 0xff00ff, v15
	v_and_b32_e32 v13, 0xff00ff, v163
	s_and_b32 s14, s35, s14
	v_bfe_i32 v180, v179, 0, 8
	v_and_b32_e32 v12, 0xff00ff00, v15
	v_and_b32_e32 v14, 0xff00ff00, v163
	v_add_co_u32 v11, null, v13, v11
	s_delay_alu instid0(VALU_DEP_4) | instskip(SKIP_1) | instid1(VALU_DEP_4)
	v_cmp_gt_i16_e64 s15, 0, v180
	v_perm_b32 v180, v161, v160, 0x7020500
	v_add_nc_u32_e32 v12, v14, v12
	s_delay_alu instid0(VALU_DEP_4)
	v_bfe_i32 v13, v11, 0, 8
	v_and_b32_e32 v162, 0xff00ff, v164
	s_and_b32 s15, s35, s15
	v_and_b32_e32 v181, 0x8000, v180
	v_and_b32_e32 v180, s31, v180
	;; [unrolled: 1-line block ×5, first 2 shown]
	v_cmp_ne_u32_e64 s16, 0, v181
	v_lshrrev_b32_e32 v181, 16, v160
	v_cmp_lt_i32_e64 s19, -1, v180
	v_and_b32_e32 v163, 0xff00ff00, v164
	v_and_b32_e32 v164, 0xff00ff, v165
	s_and_b32 s16, s35, s16
	v_bfe_i32 v182, v181, 0, 8
	v_and_b32_e32 v15, 0xff00ff, v167
	v_and_b32_e32 v23, 0xff00ff00, v167
	;; [unrolled: 1-line block ×4, first 2 shown]
	v_cmp_gt_i16_e64 s17, 0, v182
	v_sub_nc_u16 v182, 0, v8
	v_and_b32_e32 v165, 0xff00ff00, v165
	v_and_b32_e32 v177, 0xff00ff00, v177
	v_add_co_u32 v15, null, v69, v15
	s_delay_alu instid0(VALU_DEP_4)
	v_cndmask_b32_e32 v8, v8, v182, vcc_lo
	v_sub_nc_u16 v182, 0, v160
	s_and_b32 s17, s35, s17
	v_add_nc_u32_e32 v23, v70, v23
	v_bfe_i32 v69, v15, 0, 8
	v_and_b32_e32 v8, 0xff, v8
	v_cndmask_b32_e64 v160, v160, v182, s13
	v_lshrrev_b32_e32 v182, 24, v9
	v_lshrrev_b32_e32 v9, 8, v9
	s_delay_alu instid0(VALU_DEP_3) | instskip(NEXT) | instid1(VALU_DEP_3)
	v_and_b32_e32 v160, 0xff, v160
	v_sub_nc_u16 v183, 0, v182
	s_delay_alu instid0(VALU_DEP_1) | instskip(SKIP_2) | instid1(VALU_DEP_3)
	v_cndmask_b32_e64 v178, v183, v182, s18
	v_lshrrev_b32_e32 v182, 24, v161
	v_lshrrev_b32_e32 v161, 8, v161
	v_and_b32_e32 v178, 0xff, v178
	s_delay_alu instid0(VALU_DEP_3) | instskip(NEXT) | instid1(VALU_DEP_1)
	v_sub_nc_u16 v183, 0, v182
	v_cndmask_b32_e64 v180, v183, v182, s19
	v_sub_nc_u16 v182, 0, v9
	s_delay_alu instid0(VALU_DEP_2) | instskip(NEXT) | instid1(VALU_DEP_2)
	v_and_b32_e32 v180, 0xff, v180
	v_cndmask_b32_e64 v9, v9, v182, s14
	v_sub_nc_u16 v182, 0, v179
	s_delay_alu instid0(VALU_DEP_2) | instskip(NEXT) | instid1(VALU_DEP_2)
	v_and_b32_e32 v9, 0xff, v9
	;; [unrolled: 4-line block ×3, first 2 shown]
	v_cndmask_b32_e64 v161, v161, v182, s16
	v_sub_nc_u16 v182, 0, v181
	s_delay_alu instid0(VALU_DEP_1) | instskip(SKIP_1) | instid1(VALU_DEP_2)
	v_cndmask_b32_e64 v181, v181, v182, s17
	v_mul_hi_u32 v182, v8, vcc_hi
	v_and_b32_e32 v181, 0xff, v181
	s_delay_alu instid0(VALU_DEP_2) | instskip(NEXT) | instid1(VALU_DEP_1)
	v_mul_lo_u32 v183, s30, v182
	v_sub_nc_u32_e32 v8, v8, v183
	v_mul_hi_u32 v183, v160, vcc_hi
	s_delay_alu instid0(VALU_DEP_2) | instskip(NEXT) | instid1(VALU_DEP_2)
	v_cmp_le_u32_e64 s23, s30, v8
	v_mul_lo_u32 v40, s30, v183
	s_delay_alu instid0(VALU_DEP_2) | instskip(NEXT) | instid1(VALU_DEP_2)
	v_add_co_ci_u32_e64 v8, s23, 0, v182, s23
	v_sub_nc_u32_e32 v160, v160, v40
	v_mul_hi_u32 v40, v178, vcc_hi
	s_delay_alu instid0(VALU_DEP_2) | instskip(SKIP_1) | instid1(VALU_DEP_3)
	v_cmp_le_u32_e64 s20, s30, v160
	v_and_b32_e32 v160, 0xff, v161
	v_mul_lo_u32 v41, s30, v40
	s_delay_alu instid0(VALU_DEP_2) | instskip(NEXT) | instid1(VALU_DEP_2)
	v_mul_hi_u32 v161, v160, vcc_hi
	v_sub_nc_u32_e32 v178, v178, v41
	v_mul_hi_u32 v41, v180, vcc_hi
	s_delay_alu instid0(VALU_DEP_2) | instskip(NEXT) | instid1(VALU_DEP_2)
	v_cmp_le_u32_e64 s21, s30, v178
	v_mul_lo_u32 v42, s30, v41
	s_delay_alu instid0(VALU_DEP_1) | instskip(SKIP_1) | instid1(VALU_DEP_2)
	v_sub_nc_u32_e32 v180, v180, v42
	v_mul_hi_u32 v42, v9, vcc_hi
	v_cmp_le_u32_e64 s22, s30, v180
	s_delay_alu instid0(VALU_DEP_2) | instskip(NEXT) | instid1(VALU_DEP_1)
	v_mul_lo_u32 v43, s30, v42
	v_sub_nc_u32_e32 v9, v9, v43
	v_mul_hi_u32 v43, v179, vcc_hi
	s_delay_alu instid0(VALU_DEP_2) | instskip(SKIP_1) | instid1(VALU_DEP_3)
	v_cmp_le_u32_e64 s24, s30, v9
	v_sub_nc_u32_e32 v9, 0, v8
	v_mul_lo_u32 v44, s30, v43
	s_delay_alu instid0(VALU_DEP_2) | instskip(SKIP_1) | instid1(VALU_DEP_3)
	v_cndmask_b32_e32 v8, v8, v9, vcc_lo
	v_add_co_ci_u32_e64 v9, vcc_lo, 0, v183, s20
	v_sub_nc_u32_e32 v179, v179, v44
	v_mul_lo_u32 v44, s30, v161
	s_delay_alu instid0(VALU_DEP_2) | instskip(NEXT) | instid1(VALU_DEP_2)
	v_cmp_le_u32_e64 s25, s30, v179
	v_sub_nc_u32_e32 v160, v160, v44
	v_mul_hi_u32 v44, v181, vcc_hi
	s_delay_alu instid0(VALU_DEP_2) | instskip(SKIP_1) | instid1(VALU_DEP_3)
	v_cmp_le_u32_e64 s26, s30, v160
	v_sub_nc_u32_e32 v160, 0, v9
	v_mul_lo_u32 v45, s30, v44
	s_delay_alu instid0(VALU_DEP_3) | instskip(NEXT) | instid1(VALU_DEP_3)
	v_add_co_ci_u32_e64 v161, vcc_lo, 0, v161, s26
	v_cndmask_b32_e64 v9, v9, v160, s13
	v_add_co_ci_u32_e64 v160, vcc_lo, 0, v40, s21
	s_delay_alu instid0(VALU_DEP_4) | instskip(NEXT) | instid1(VALU_DEP_2)
	v_sub_nc_u32_e32 v181, v181, v45
	v_sub_nc_u32_e32 v178, 0, v160
	s_delay_alu instid0(VALU_DEP_2) | instskip(NEXT) | instid1(VALU_DEP_2)
	v_cmp_le_u32_e64 s27, s30, v181
	v_cndmask_b32_e64 v160, v178, v160, s18
	v_add_co_ci_u32_e64 v178, vcc_lo, 0, v41, s22
	s_delay_alu instid0(VALU_DEP_2) | instskip(NEXT) | instid1(VALU_DEP_2)
	v_lshlrev_b32_e32 v160, 24, v160
	v_sub_nc_u32_e32 v179, 0, v178
	s_delay_alu instid0(VALU_DEP_1) | instskip(SKIP_1) | instid1(VALU_DEP_1)
	v_cndmask_b32_e64 v178, v179, v178, s19
	v_add_co_ci_u32_e64 v179, vcc_lo, 0, v42, s24
	v_sub_nc_u32_e32 v180, 0, v179
	s_delay_alu instid0(VALU_DEP_1) | instskip(SKIP_1) | instid1(VALU_DEP_2)
	v_cndmask_b32_e64 v179, v179, v180, s14
	v_add_co_ci_u32_e64 v180, vcc_lo, 0, v43, s25
	v_lshlrev_b32_e32 v179, 8, v179
	s_delay_alu instid0(VALU_DEP_2) | instskip(NEXT) | instid1(VALU_DEP_2)
	v_sub_nc_u32_e32 v181, 0, v180
	v_perm_b32 v8, v179, v8, 0xc0c0500
	s_delay_alu instid0(VALU_DEP_2) | instskip(SKIP_1) | instid1(VALU_DEP_1)
	v_cndmask_b32_e64 v180, v180, v181, s15
	v_sub_nc_u32_e32 v181, 0, v161
	v_cndmask_b32_e64 v161, v161, v181, s16
	v_add_co_ci_u32_e64 v181, vcc_lo, 0, v44, s27
	v_cmp_gt_i16_e32 vcc_lo, 0, v82
	v_perm_b32 v82, v71, v10, 0x7020500
	s_delay_alu instid0(VALU_DEP_4) | instskip(NEXT) | instid1(VALU_DEP_4)
	v_lshlrev_b32_e32 v161, 8, v161
	v_sub_nc_u32_e32 v182, 0, v181
	s_and_b32 vcc_lo, s35, vcc_lo
	s_delay_alu instid0(VALU_DEP_3) | instskip(NEXT) | instid1(VALU_DEP_3)
	v_and_b32_e32 v83, 0x8000, v82
	v_perm_b32 v9, v161, v9, 0xc0c0500
	v_lshlrev_b32_e32 v161, 24, v178
	v_and_b32_e32 v178, 0xff, v180
	v_cndmask_b32_e64 v181, v181, v182, s17
	v_cmp_ne_u32_e64 s13, 0, v83
	v_lshrrev_b32_e32 v83, 16, v10
	v_and_b32_e32 v82, s31, v82
	v_lshlrev_b32_e32 v178, 16, v178
	v_and_b32_e32 v179, 0xff, v181
	s_and_b32 s13, s35, s13
	s_delay_alu instid0(VALU_DEP_3) | instskip(NEXT) | instid1(VALU_DEP_3)
	v_cmp_lt_i32_e64 s15, -1, v82
	v_or3_b32 v8, v160, v178, v8
	v_bfe_i32 v160, v83, 0, 8
	v_lshlrev_b32_e32 v179, 16, v179
	s_delay_alu instid0(VALU_DEP_2) | instskip(SKIP_1) | instid1(VALU_DEP_3)
	v_cmp_gt_i16_e64 s14, 0, v160
	v_sub_nc_u16 v160, 0, v10
	v_or3_b32 v9, v161, v179, v9
	s_delay_alu instid0(VALU_DEP_3) | instskip(NEXT) | instid1(VALU_DEP_2)
	s_and_b32 s14, s35, s14
	v_cndmask_b32_e32 v10, v10, v160, vcc_lo
	v_lshrrev_b32_e32 v160, 24, v71
	v_lshrrev_b32_e32 v71, 8, v71
	s_delay_alu instid0(VALU_DEP_3) | instskip(NEXT) | instid1(VALU_DEP_3)
	v_and_b32_e32 v10, 0xff, v10
	v_sub_nc_u16 v161, 0, v160
	s_delay_alu instid0(VALU_DEP_1) | instskip(NEXT) | instid1(VALU_DEP_4)
	v_cndmask_b32_e64 v82, v161, v160, s15
	v_sub_nc_u16 v160, 0, v71
	s_delay_alu instid0(VALU_DEP_2) | instskip(NEXT) | instid1(VALU_DEP_2)
	v_and_b32_e32 v82, 0xff, v82
	v_cndmask_b32_e64 v71, v71, v160, s13
	v_sub_nc_u16 v160, 0, v83
	s_delay_alu instid0(VALU_DEP_2) | instskip(NEXT) | instid1(VALU_DEP_2)
	v_and_b32_e32 v71, 0xff, v71
	v_cndmask_b32_e64 v83, v83, v160, s14
	v_mul_hi_u32 v160, v10, vcc_hi
	s_delay_alu instid0(VALU_DEP_2) | instskip(NEXT) | instid1(VALU_DEP_2)
	v_and_b32_e32 v83, 0xff, v83
	v_mul_lo_u32 v161, s30, v160
	s_delay_alu instid0(VALU_DEP_1) | instskip(SKIP_1) | instid1(VALU_DEP_2)
	v_sub_nc_u32_e32 v10, v10, v161
	v_mul_hi_u32 v161, v82, vcc_hi
	v_cmp_le_u32_e64 s17, s30, v10
	s_delay_alu instid0(VALU_DEP_2) | instskip(NEXT) | instid1(VALU_DEP_2)
	v_mul_lo_u32 v178, s30, v161
	v_add_co_ci_u32_e64 v10, s17, 0, v160, s17
	s_delay_alu instid0(VALU_DEP_2) | instskip(SKIP_1) | instid1(VALU_DEP_2)
	v_sub_nc_u32_e32 v82, v82, v178
	v_mul_hi_u32 v178, v71, vcc_hi
	v_cmp_le_u32_e64 s16, s30, v82
	s_delay_alu instid0(VALU_DEP_2) | instskip(NEXT) | instid1(VALU_DEP_1)
	v_mul_lo_u32 v179, s30, v178
	v_sub_nc_u32_e32 v71, v71, v179
	v_mul_hi_u32 v179, v83, vcc_hi
	s_delay_alu instid0(VALU_DEP_2) | instskip(SKIP_1) | instid1(VALU_DEP_3)
	v_cmp_le_u32_e64 s18, s30, v71
	v_sub_nc_u32_e32 v71, 0, v10
	v_mul_lo_u32 v180, s30, v179
	s_delay_alu instid0(VALU_DEP_2) | instskip(SKIP_1) | instid1(VALU_DEP_1)
	v_cndmask_b32_e32 v10, v10, v71, vcc_lo
	v_add_co_ci_u32_e64 v71, vcc_lo, 0, v161, s16
	v_sub_nc_u32_e32 v82, 0, v71
	s_delay_alu instid0(VALU_DEP_4) | instskip(NEXT) | instid1(VALU_DEP_2)
	v_sub_nc_u32_e32 v83, v83, v180
	v_cndmask_b32_e64 v71, v82, v71, s15
	v_add_co_ci_u32_e64 v82, vcc_lo, 0, v178, s18
	s_delay_alu instid0(VALU_DEP_3) | instskip(NEXT) | instid1(VALU_DEP_3)
	v_cmp_le_u32_e64 s19, s30, v83
	v_lshlrev_b32_e32 v71, 24, v71
	s_delay_alu instid0(VALU_DEP_3) | instskip(NEXT) | instid1(VALU_DEP_1)
	v_sub_nc_u32_e32 v83, 0, v82
	v_cndmask_b32_e64 v82, v82, v83, s13
	s_delay_alu instid0(VALU_DEP_4) | instskip(SKIP_2) | instid1(VALU_DEP_4)
	v_add_co_ci_u32_e64 v83, vcc_lo, 0, v179, s19
	v_cmp_gt_i16_e32 vcc_lo, 0, v13
	v_perm_b32 v13, v12, v11, 0x7020500
	v_lshlrev_b32_e32 v82, 8, v82
	s_delay_alu instid0(VALU_DEP_4) | instskip(SKIP_1) | instid1(VALU_DEP_3)
	v_sub_nc_u32_e32 v160, 0, v83
	s_and_b32 vcc_lo, s35, vcc_lo
	v_and_b32_e32 v14, 0x8000, v13
	s_delay_alu instid0(VALU_DEP_3) | instskip(NEXT) | instid1(VALU_DEP_3)
	v_perm_b32 v10, v82, v10, 0xc0c0500
	v_cndmask_b32_e64 v83, v83, v160, s14
	v_and_b32_e32 v13, s31, v13
	s_delay_alu instid0(VALU_DEP_4) | instskip(SKIP_1) | instid1(VALU_DEP_4)
	v_cmp_ne_u32_e64 s13, 0, v14
	v_lshrrev_b32_e32 v14, 16, v11
	v_and_b32_e32 v82, 0xff, v83
	s_delay_alu instid0(VALU_DEP_4) | instskip(NEXT) | instid1(VALU_DEP_4)
	v_cmp_lt_i32_e64 s15, -1, v13
	s_and_b32 s13, s35, s13
	s_delay_alu instid0(VALU_DEP_2) | instskip(NEXT) | instid1(VALU_DEP_1)
	v_lshlrev_b32_e32 v82, 16, v82
	v_or3_b32 v10, v71, v82, v10
	v_bfe_i32 v71, v14, 0, 8
	s_delay_alu instid0(VALU_DEP_1) | instskip(SKIP_1) | instid1(VALU_DEP_2)
	v_cmp_gt_i16_e64 s14, 0, v71
	v_sub_nc_u16 v71, 0, v11
	s_and_b32 s14, s35, s14
	s_delay_alu instid0(VALU_DEP_1) | instskip(SKIP_2) | instid1(VALU_DEP_3)
	v_cndmask_b32_e32 v11, v11, v71, vcc_lo
	v_lshrrev_b32_e32 v71, 24, v12
	v_lshrrev_b32_e32 v12, 8, v12
	v_and_b32_e32 v11, 0xff, v11
	s_delay_alu instid0(VALU_DEP_3) | instskip(NEXT) | instid1(VALU_DEP_1)
	v_sub_nc_u16 v82, 0, v71
	v_cndmask_b32_e64 v13, v82, v71, s15
	s_delay_alu instid0(VALU_DEP_4) | instskip(NEXT) | instid1(VALU_DEP_2)
	v_sub_nc_u16 v71, 0, v12
	v_and_b32_e32 v13, 0xff, v13
	s_delay_alu instid0(VALU_DEP_2) | instskip(SKIP_1) | instid1(VALU_DEP_2)
	v_cndmask_b32_e64 v12, v12, v71, s13
	v_sub_nc_u16 v71, 0, v14
	v_and_b32_e32 v12, 0xff, v12
	s_delay_alu instid0(VALU_DEP_2) | instskip(SKIP_1) | instid1(VALU_DEP_2)
	v_cndmask_b32_e64 v14, v14, v71, s14
	v_mul_hi_u32 v71, v11, vcc_hi
	v_and_b32_e32 v14, 0xff, v14
	s_delay_alu instid0(VALU_DEP_2) | instskip(NEXT) | instid1(VALU_DEP_1)
	v_mul_lo_u32 v82, s30, v71
	v_sub_nc_u32_e32 v11, v11, v82
	v_mul_hi_u32 v82, v13, vcc_hi
	s_delay_alu instid0(VALU_DEP_2) | instskip(NEXT) | instid1(VALU_DEP_2)
	v_cmp_le_u32_e64 s17, s30, v11
	v_mul_lo_u32 v83, s30, v82
	s_delay_alu instid0(VALU_DEP_2) | instskip(NEXT) | instid1(VALU_DEP_2)
	v_add_co_ci_u32_e64 v11, s17, 0, v71, s17
	v_sub_nc_u32_e32 v13, v13, v83
	v_mul_hi_u32 v83, v12, vcc_hi
	s_delay_alu instid0(VALU_DEP_2) | instskip(NEXT) | instid1(VALU_DEP_2)
	v_cmp_le_u32_e64 s16, s30, v13
	v_mul_lo_u32 v160, s30, v83
	s_delay_alu instid0(VALU_DEP_1) | instskip(SKIP_1) | instid1(VALU_DEP_2)
	v_sub_nc_u32_e32 v12, v12, v160
	v_mul_hi_u32 v160, v14, vcc_hi
	v_cmp_le_u32_e64 s18, s30, v12
	v_sub_nc_u32_e32 v12, 0, v11
	s_delay_alu instid0(VALU_DEP_3) | instskip(NEXT) | instid1(VALU_DEP_2)
	v_mul_lo_u32 v161, s30, v160
	v_cndmask_b32_e32 v11, v11, v12, vcc_lo
	v_add_co_ci_u32_e64 v12, vcc_lo, 0, v82, s16
	s_delay_alu instid0(VALU_DEP_1) | instskip(NEXT) | instid1(VALU_DEP_4)
	v_sub_nc_u32_e32 v13, 0, v12
	v_sub_nc_u32_e32 v14, v14, v161
	s_delay_alu instid0(VALU_DEP_2) | instskip(SKIP_1) | instid1(VALU_DEP_3)
	v_cndmask_b32_e64 v12, v13, v12, s15
	v_add_co_ci_u32_e64 v13, vcc_lo, 0, v83, s18
	v_cmp_le_u32_e64 s19, s30, v14
	s_delay_alu instid0(VALU_DEP_3) | instskip(NEXT) | instid1(VALU_DEP_3)
	v_lshlrev_b32_e32 v12, 24, v12
	v_sub_nc_u32_e32 v14, 0, v13
	s_delay_alu instid0(VALU_DEP_1) | instskip(NEXT) | instid1(VALU_DEP_4)
	v_cndmask_b32_e64 v13, v13, v14, s13
	v_add_co_ci_u32_e64 v14, vcc_lo, 0, v160, s19
	s_delay_alu instid0(VALU_DEP_2) | instskip(NEXT) | instid1(VALU_DEP_2)
	v_lshlrev_b32_e32 v13, 8, v13
	v_sub_nc_u32_e32 v71, 0, v14
	s_delay_alu instid0(VALU_DEP_2) | instskip(NEXT) | instid1(VALU_DEP_2)
	v_perm_b32 v11, v13, v11, 0xc0c0500
	v_cndmask_b32_e64 v14, v14, v71, s14
	v_add_nc_u32_e32 v71, v177, v165
	s_delay_alu instid0(VALU_DEP_2) | instskip(SKIP_1) | instid1(VALU_DEP_2)
	v_and_b32_e32 v13, 0xff, v14
	v_add_co_u32 v14, null, v176, v164
	v_lshlrev_b32_e32 v13, 16, v13
	s_delay_alu instid0(VALU_DEP_1) | instskip(SKIP_2) | instid1(VALU_DEP_2)
	v_or3_b32 v11, v12, v13, v11
	v_add_co_u32 v12, null, v166, v162
	v_add_nc_u32_e32 v13, v167, v163
	v_bfe_i32 v82, v12, 0, 8
	s_delay_alu instid0(VALU_DEP_1) | instskip(SKIP_2) | instid1(VALU_DEP_1)
	v_cmp_gt_i16_e32 vcc_lo, 0, v82
	v_bfe_i32 v82, v14, 0, 8
	s_and_b32 vcc_lo, s35, vcc_lo
	v_cmp_gt_i16_e64 s13, 0, v82
	v_perm_b32 v82, v13, v12, 0x7020500
	s_delay_alu instid0(VALU_DEP_2) | instskip(NEXT) | instid1(VALU_DEP_1)
	s_and_b32 s13, s35, s13
	v_and_b32_e32 v83, 0x8000, v82
	v_and_b32_e32 v82, s31, v82
	s_delay_alu instid0(VALU_DEP_2) | instskip(SKIP_1) | instid1(VALU_DEP_3)
	v_cmp_ne_u32_e64 s14, 0, v83
	v_lshrrev_b32_e32 v83, 16, v12
	v_cmp_lt_i32_e64 s18, -1, v82
	s_delay_alu instid0(VALU_DEP_3) | instskip(NEXT) | instid1(VALU_DEP_2)
	s_and_b32 s14, s35, s14
	v_bfe_i32 v160, v83, 0, 8
	s_delay_alu instid0(VALU_DEP_1) | instskip(SKIP_1) | instid1(VALU_DEP_2)
	v_cmp_gt_i16_e64 s15, 0, v160
	v_perm_b32 v160, v71, v14, 0x7020500
	s_and_b32 s15, s35, s15
	s_delay_alu instid0(VALU_DEP_1) | instskip(SKIP_1) | instid1(VALU_DEP_2)
	v_and_b32_e32 v161, 0x8000, v160
	v_and_b32_e32 v160, s31, v160
	v_cmp_ne_u32_e64 s16, 0, v161
	v_lshrrev_b32_e32 v161, 16, v14
	s_delay_alu instid0(VALU_DEP_3) | instskip(NEXT) | instid1(VALU_DEP_3)
	v_cmp_lt_i32_e64 s19, -1, v160
	s_and_b32 s16, s35, s16
	s_delay_alu instid0(VALU_DEP_2) | instskip(NEXT) | instid1(VALU_DEP_1)
	v_bfe_i32 v162, v161, 0, 8
	v_cmp_gt_i16_e64 s17, 0, v162
	v_sub_nc_u16 v162, 0, v12
	s_delay_alu instid0(VALU_DEP_2) | instskip(NEXT) | instid1(VALU_DEP_1)
	s_and_b32 s17, s35, s17
	v_cndmask_b32_e32 v12, v12, v162, vcc_lo
	v_sub_nc_u16 v162, 0, v14
	s_delay_alu instid0(VALU_DEP_2) | instskip(NEXT) | instid1(VALU_DEP_2)
	v_and_b32_e32 v12, 0xff, v12
	v_cndmask_b32_e64 v14, v14, v162, s13
	v_lshrrev_b32_e32 v162, 24, v13
	v_lshrrev_b32_e32 v13, 8, v13
	s_delay_alu instid0(VALU_DEP_3) | instskip(NEXT) | instid1(VALU_DEP_3)
	v_and_b32_e32 v14, 0xff, v14
	v_sub_nc_u16 v163, 0, v162
	s_delay_alu instid0(VALU_DEP_1) | instskip(SKIP_2) | instid1(VALU_DEP_3)
	v_cndmask_b32_e64 v82, v163, v162, s18
	v_lshrrev_b32_e32 v162, 24, v71
	v_lshrrev_b32_e32 v71, 8, v71
	v_and_b32_e32 v82, 0xff, v82
	s_delay_alu instid0(VALU_DEP_3) | instskip(NEXT) | instid1(VALU_DEP_1)
	v_sub_nc_u16 v163, 0, v162
	v_cndmask_b32_e64 v160, v163, v162, s19
	v_sub_nc_u16 v162, 0, v13
	s_delay_alu instid0(VALU_DEP_2) | instskip(NEXT) | instid1(VALU_DEP_2)
	v_and_b32_e32 v160, 0xff, v160
	v_cndmask_b32_e64 v13, v13, v162, s14
	v_sub_nc_u16 v162, 0, v83
	s_delay_alu instid0(VALU_DEP_2) | instskip(NEXT) | instid1(VALU_DEP_2)
	v_and_b32_e32 v13, 0xff, v13
	;; [unrolled: 4-line block ×3, first 2 shown]
	v_cndmask_b32_e64 v71, v71, v162, s16
	v_sub_nc_u16 v162, 0, v161
	s_delay_alu instid0(VALU_DEP_1) | instskip(SKIP_1) | instid1(VALU_DEP_2)
	v_cndmask_b32_e64 v161, v161, v162, s17
	v_mul_hi_u32 v162, v12, vcc_hi
	v_and_b32_e32 v161, 0xff, v161
	s_delay_alu instid0(VALU_DEP_2) | instskip(NEXT) | instid1(VALU_DEP_1)
	v_mul_lo_u32 v163, s30, v162
	v_sub_nc_u32_e32 v12, v12, v163
	v_mul_hi_u32 v163, v14, vcc_hi
	s_delay_alu instid0(VALU_DEP_2) | instskip(NEXT) | instid1(VALU_DEP_2)
	v_cmp_le_u32_e64 s23, s30, v12
	v_mul_lo_u32 v164, s30, v163
	s_delay_alu instid0(VALU_DEP_2) | instskip(NEXT) | instid1(VALU_DEP_2)
	v_add_co_ci_u32_e64 v12, s23, 0, v162, s23
	v_sub_nc_u32_e32 v14, v14, v164
	v_mul_hi_u32 v164, v82, vcc_hi
	s_delay_alu instid0(VALU_DEP_2) | instskip(SKIP_1) | instid1(VALU_DEP_3)
	v_cmp_le_u32_e64 s20, s30, v14
	v_and_b32_e32 v14, 0xff, v71
	v_mul_lo_u32 v165, s30, v164
	s_delay_alu instid0(VALU_DEP_2) | instskip(NEXT) | instid1(VALU_DEP_2)
	v_mul_hi_u32 v71, v14, vcc_hi
	v_sub_nc_u32_e32 v82, v82, v165
	v_mul_hi_u32 v165, v160, vcc_hi
	s_delay_alu instid0(VALU_DEP_2) | instskip(NEXT) | instid1(VALU_DEP_2)
	v_cmp_le_u32_e64 s21, s30, v82
	v_mul_lo_u32 v166, s30, v165
	s_delay_alu instid0(VALU_DEP_1) | instskip(SKIP_1) | instid1(VALU_DEP_2)
	v_sub_nc_u32_e32 v160, v160, v166
	v_mul_hi_u32 v166, v13, vcc_hi
	v_cmp_le_u32_e64 s22, s30, v160
	s_delay_alu instid0(VALU_DEP_2) | instskip(NEXT) | instid1(VALU_DEP_1)
	v_mul_lo_u32 v167, s30, v166
	v_sub_nc_u32_e32 v13, v13, v167
	v_mul_hi_u32 v167, v83, vcc_hi
	s_delay_alu instid0(VALU_DEP_2) | instskip(SKIP_1) | instid1(VALU_DEP_3)
	v_cmp_le_u32_e64 s24, s30, v13
	v_sub_nc_u32_e32 v13, 0, v12
	v_mul_lo_u32 v176, s30, v167
	s_delay_alu instid0(VALU_DEP_2) | instskip(SKIP_1) | instid1(VALU_DEP_3)
	v_cndmask_b32_e32 v12, v12, v13, vcc_lo
	v_add_co_ci_u32_e64 v13, vcc_lo, 0, v163, s20
	v_sub_nc_u32_e32 v83, v83, v176
	v_mul_lo_u32 v176, s30, v71
	s_delay_alu instid0(VALU_DEP_2) | instskip(NEXT) | instid1(VALU_DEP_2)
	v_cmp_le_u32_e64 s25, s30, v83
	v_sub_nc_u32_e32 v14, v14, v176
	v_mul_hi_u32 v176, v161, vcc_hi
	s_delay_alu instid0(VALU_DEP_2) | instskip(SKIP_1) | instid1(VALU_DEP_3)
	v_cmp_le_u32_e64 s26, s30, v14
	v_sub_nc_u32_e32 v14, 0, v13
	v_mul_lo_u32 v177, s30, v176
	s_delay_alu instid0(VALU_DEP_3) | instskip(NEXT) | instid1(VALU_DEP_3)
	v_add_co_ci_u32_e64 v71, vcc_lo, 0, v71, s26
	v_cndmask_b32_e64 v13, v13, v14, s13
	v_add_co_ci_u32_e64 v14, vcc_lo, 0, v164, s21
	s_delay_alu instid0(VALU_DEP_4) | instskip(NEXT) | instid1(VALU_DEP_2)
	v_sub_nc_u32_e32 v161, v161, v177
	v_sub_nc_u32_e32 v82, 0, v14
	s_delay_alu instid0(VALU_DEP_2) | instskip(NEXT) | instid1(VALU_DEP_2)
	v_cmp_le_u32_e64 s27, s30, v161
	v_cndmask_b32_e64 v14, v82, v14, s18
	v_add_co_ci_u32_e64 v82, vcc_lo, 0, v165, s22
	s_delay_alu instid0(VALU_DEP_2) | instskip(NEXT) | instid1(VALU_DEP_2)
	v_lshlrev_b32_e32 v14, 24, v14
	v_sub_nc_u32_e32 v83, 0, v82
	s_delay_alu instid0(VALU_DEP_1) | instskip(SKIP_1) | instid1(VALU_DEP_1)
	v_cndmask_b32_e64 v82, v83, v82, s19
	v_add_co_ci_u32_e64 v83, vcc_lo, 0, v166, s24
	v_sub_nc_u32_e32 v160, 0, v83
	s_delay_alu instid0(VALU_DEP_1) | instskip(SKIP_1) | instid1(VALU_DEP_2)
	v_cndmask_b32_e64 v83, v83, v160, s14
	v_add_co_ci_u32_e64 v160, vcc_lo, 0, v167, s25
	v_lshlrev_b32_e32 v83, 8, v83
	s_delay_alu instid0(VALU_DEP_2) | instskip(NEXT) | instid1(VALU_DEP_2)
	v_sub_nc_u32_e32 v161, 0, v160
	v_perm_b32 v12, v83, v12, 0xc0c0500
	s_delay_alu instid0(VALU_DEP_2) | instskip(SKIP_1) | instid1(VALU_DEP_1)
	v_cndmask_b32_e64 v160, v160, v161, s15
	v_sub_nc_u32_e32 v161, 0, v71
	v_cndmask_b32_e64 v71, v71, v161, s16
	v_add_co_ci_u32_e64 v161, vcc_lo, 0, v176, s27
	s_delay_alu instid0(VALU_DEP_2) | instskip(NEXT) | instid1(VALU_DEP_2)
	v_lshlrev_b32_e32 v71, 8, v71
	v_sub_nc_u32_e32 v162, 0, v161
	s_delay_alu instid0(VALU_DEP_2) | instskip(NEXT) | instid1(VALU_DEP_2)
	v_perm_b32 v13, v71, v13, 0xc0c0500
	v_cndmask_b32_e64 v161, v161, v162, s17
	v_lshlrev_b32_e32 v71, 24, v82
	v_and_b32_e32 v82, 0xff, v160
	s_delay_alu instid0(VALU_DEP_3) | instskip(NEXT) | instid1(VALU_DEP_2)
	v_and_b32_e32 v83, 0xff, v161
	v_lshlrev_b32_e32 v82, 16, v82
	s_delay_alu instid0(VALU_DEP_2) | instskip(NEXT) | instid1(VALU_DEP_2)
	v_lshlrev_b32_e32 v83, 16, v83
	v_or3_b32 v12, v14, v82, v12
	v_add_co_u32 v14, null, v84, v80
	s_delay_alu instid0(VALU_DEP_3) | instskip(SKIP_1) | instid1(VALU_DEP_3)
	v_or3_b32 v13, v71, v83, v13
	v_add_nc_u32_e32 v71, v85, v81
	v_bfe_i32 v80, v14, 0, 8
	s_delay_alu instid0(VALU_DEP_1) | instskip(NEXT) | instid1(VALU_DEP_3)
	v_cmp_gt_i16_e32 vcc_lo, 0, v80
	v_perm_b32 v80, v71, v14, 0x7020500
	s_and_b32 vcc_lo, s35, vcc_lo
	s_delay_alu instid0(VALU_DEP_1) | instskip(SKIP_1) | instid1(VALU_DEP_2)
	v_and_b32_e32 v81, 0x8000, v80
	v_and_b32_e32 v80, s31, v80
	v_cmp_ne_u32_e64 s13, 0, v81
	v_lshrrev_b32_e32 v81, 16, v14
	s_delay_alu instid0(VALU_DEP_3) | instskip(NEXT) | instid1(VALU_DEP_3)
	v_cmp_lt_i32_e64 s15, -1, v80
	s_and_b32 s13, s35, s13
	s_delay_alu instid0(VALU_DEP_2) | instskip(NEXT) | instid1(VALU_DEP_1)
	v_bfe_i32 v82, v81, 0, 8
	v_cmp_gt_i16_e64 s14, 0, v82
	v_sub_nc_u16 v82, 0, v14
	s_delay_alu instid0(VALU_DEP_2) | instskip(NEXT) | instid1(VALU_DEP_1)
	s_and_b32 s14, s35, s14
	v_cndmask_b32_e32 v14, v14, v82, vcc_lo
	v_lshrrev_b32_e32 v82, 24, v71
	v_lshrrev_b32_e32 v71, 8, v71
	s_delay_alu instid0(VALU_DEP_3) | instskip(NEXT) | instid1(VALU_DEP_3)
	v_and_b32_e32 v14, 0xff, v14
	v_sub_nc_u16 v83, 0, v82
	s_delay_alu instid0(VALU_DEP_1) | instskip(NEXT) | instid1(VALU_DEP_4)
	v_cndmask_b32_e64 v80, v83, v82, s15
	v_sub_nc_u16 v82, 0, v71
	s_delay_alu instid0(VALU_DEP_2) | instskip(NEXT) | instid1(VALU_DEP_2)
	v_and_b32_e32 v80, 0xff, v80
	v_cndmask_b32_e64 v71, v71, v82, s13
	v_sub_nc_u16 v82, 0, v81
	s_delay_alu instid0(VALU_DEP_2) | instskip(NEXT) | instid1(VALU_DEP_2)
	v_and_b32_e32 v71, 0xff, v71
	v_cndmask_b32_e64 v81, v81, v82, s14
	v_mul_hi_u32 v82, v14, vcc_hi
	s_delay_alu instid0(VALU_DEP_2) | instskip(NEXT) | instid1(VALU_DEP_2)
	v_and_b32_e32 v81, 0xff, v81
	v_mul_lo_u32 v83, s30, v82
	s_delay_alu instid0(VALU_DEP_1) | instskip(SKIP_1) | instid1(VALU_DEP_2)
	v_sub_nc_u32_e32 v14, v14, v83
	v_mul_hi_u32 v83, v80, vcc_hi
	v_cmp_le_u32_e64 s17, s30, v14
	s_delay_alu instid0(VALU_DEP_2) | instskip(NEXT) | instid1(VALU_DEP_2)
	v_mul_lo_u32 v84, s30, v83
	v_add_co_ci_u32_e64 v14, s17, 0, v82, s17
	s_delay_alu instid0(VALU_DEP_2) | instskip(SKIP_1) | instid1(VALU_DEP_2)
	v_sub_nc_u32_e32 v80, v80, v84
	v_mul_hi_u32 v84, v71, vcc_hi
	v_cmp_le_u32_e64 s16, s30, v80
	s_delay_alu instid0(VALU_DEP_2) | instskip(NEXT) | instid1(VALU_DEP_1)
	v_mul_lo_u32 v85, s30, v84
	v_sub_nc_u32_e32 v71, v71, v85
	v_mul_hi_u32 v85, v81, vcc_hi
	s_delay_alu instid0(VALU_DEP_2) | instskip(SKIP_1) | instid1(VALU_DEP_3)
	v_cmp_le_u32_e64 s18, s30, v71
	v_sub_nc_u32_e32 v71, 0, v14
	v_mul_lo_u32 v160, s30, v85
	s_delay_alu instid0(VALU_DEP_2) | instskip(SKIP_1) | instid1(VALU_DEP_1)
	v_cndmask_b32_e32 v14, v14, v71, vcc_lo
	v_add_co_ci_u32_e64 v71, vcc_lo, 0, v83, s16
	v_sub_nc_u32_e32 v80, 0, v71
	s_delay_alu instid0(VALU_DEP_4) | instskip(NEXT) | instid1(VALU_DEP_2)
	v_sub_nc_u32_e32 v81, v81, v160
	v_cndmask_b32_e64 v71, v80, v71, s15
	v_add_co_ci_u32_e64 v80, vcc_lo, 0, v84, s18
	s_delay_alu instid0(VALU_DEP_3) | instskip(NEXT) | instid1(VALU_DEP_3)
	v_cmp_le_u32_e64 s19, s30, v81
	v_lshlrev_b32_e32 v71, 24, v71
	s_delay_alu instid0(VALU_DEP_3) | instskip(NEXT) | instid1(VALU_DEP_1)
	v_sub_nc_u32_e32 v81, 0, v80
	v_cndmask_b32_e64 v80, v80, v81, s13
	s_delay_alu instid0(VALU_DEP_4) | instskip(SKIP_2) | instid1(VALU_DEP_4)
	v_add_co_ci_u32_e64 v81, vcc_lo, 0, v85, s19
	v_cmp_gt_i16_e32 vcc_lo, 0, v69
	v_perm_b32 v69, v23, v15, 0x7020500
	v_lshlrev_b32_e32 v80, 8, v80
	s_delay_alu instid0(VALU_DEP_4) | instskip(SKIP_1) | instid1(VALU_DEP_3)
	v_sub_nc_u32_e32 v82, 0, v81
	s_and_b32 vcc_lo, s35, vcc_lo
	v_and_b32_e32 v70, 0x8000, v69
	s_delay_alu instid0(VALU_DEP_3) | instskip(NEXT) | instid1(VALU_DEP_3)
	v_perm_b32 v14, v80, v14, 0xc0c0500
	v_cndmask_b32_e64 v81, v81, v82, s14
	v_and_b32_e32 v69, s31, v69
	s_delay_alu instid0(VALU_DEP_4) | instskip(SKIP_1) | instid1(VALU_DEP_4)
	v_cmp_ne_u32_e64 s13, 0, v70
	v_lshrrev_b32_e32 v70, 16, v15
	v_and_b32_e32 v80, 0xff, v81
	s_delay_alu instid0(VALU_DEP_4) | instskip(NEXT) | instid1(VALU_DEP_4)
	v_cmp_lt_i32_e64 s15, -1, v69
	s_and_b32 s13, s35, s13
	s_delay_alu instid0(VALU_DEP_2) | instskip(NEXT) | instid1(VALU_DEP_1)
	v_lshlrev_b32_e32 v80, 16, v80
	v_or3_b32 v14, v71, v80, v14
	v_bfe_i32 v71, v70, 0, 8
	s_delay_alu instid0(VALU_DEP_1) | instskip(SKIP_1) | instid1(VALU_DEP_2)
	v_cmp_gt_i16_e64 s14, 0, v71
	v_sub_nc_u16 v71, 0, v15
	s_and_b32 s14, s35, s14
	s_delay_alu instid0(VALU_DEP_1) | instskip(SKIP_2) | instid1(VALU_DEP_3)
	v_cndmask_b32_e32 v15, v15, v71, vcc_lo
	v_lshrrev_b32_e32 v71, 24, v23
	v_lshrrev_b32_e32 v23, 8, v23
	v_and_b32_e32 v15, 0xff, v15
	s_delay_alu instid0(VALU_DEP_3) | instskip(NEXT) | instid1(VALU_DEP_1)
	v_sub_nc_u16 v80, 0, v71
	v_cndmask_b32_e64 v69, v80, v71, s15
	s_delay_alu instid0(VALU_DEP_4) | instskip(NEXT) | instid1(VALU_DEP_2)
	v_sub_nc_u16 v71, 0, v23
	v_and_b32_e32 v69, 0xff, v69
	s_delay_alu instid0(VALU_DEP_2) | instskip(SKIP_1) | instid1(VALU_DEP_2)
	v_cndmask_b32_e64 v23, v23, v71, s13
	v_sub_nc_u16 v71, 0, v70
	v_and_b32_e32 v23, 0xff, v23
	s_delay_alu instid0(VALU_DEP_2) | instskip(SKIP_1) | instid1(VALU_DEP_2)
	v_cndmask_b32_e64 v70, v70, v71, s14
	v_mul_hi_u32 v71, v15, vcc_hi
	v_and_b32_e32 v70, 0xff, v70
	s_delay_alu instid0(VALU_DEP_2) | instskip(NEXT) | instid1(VALU_DEP_1)
	v_mul_lo_u32 v80, s30, v71
	v_sub_nc_u32_e32 v15, v15, v80
	v_mul_hi_u32 v80, v69, vcc_hi
	s_delay_alu instid0(VALU_DEP_2) | instskip(NEXT) | instid1(VALU_DEP_2)
	v_cmp_le_u32_e64 s17, s30, v15
	v_mul_lo_u32 v81, s30, v80
	s_delay_alu instid0(VALU_DEP_2) | instskip(NEXT) | instid1(VALU_DEP_2)
	v_add_co_ci_u32_e64 v15, s17, 0, v71, s17
	v_sub_nc_u32_e32 v69, v69, v81
	v_mul_hi_u32 v81, v23, vcc_hi
	s_delay_alu instid0(VALU_DEP_2) | instskip(NEXT) | instid1(VALU_DEP_2)
	v_cmp_le_u32_e64 s16, s30, v69
	v_mul_lo_u32 v82, s30, v81
	s_delay_alu instid0(VALU_DEP_1) | instskip(SKIP_1) | instid1(VALU_DEP_2)
	v_sub_nc_u32_e32 v23, v23, v82
	v_mul_hi_u32 v82, v70, vcc_hi
	v_cmp_le_u32_e64 s18, s30, v23
	v_sub_nc_u32_e32 v23, 0, v15
	s_delay_alu instid0(VALU_DEP_3) | instskip(NEXT) | instid1(VALU_DEP_2)
	v_mul_lo_u32 v83, s30, v82
	v_cndmask_b32_e32 v15, v15, v23, vcc_lo
	v_add_co_ci_u32_e64 v23, vcc_lo, 0, v80, s16
	s_delay_alu instid0(VALU_DEP_1) | instskip(NEXT) | instid1(VALU_DEP_4)
	v_sub_nc_u32_e32 v69, 0, v23
	v_sub_nc_u32_e32 v70, v70, v83
	s_delay_alu instid0(VALU_DEP_2) | instskip(SKIP_1) | instid1(VALU_DEP_3)
	v_cndmask_b32_e64 v23, v69, v23, s15
	v_add_co_ci_u32_e64 v69, vcc_lo, 0, v81, s18
	v_cmp_le_u32_e64 s19, s30, v70
	s_delay_alu instid0(VALU_DEP_3) | instskip(NEXT) | instid1(VALU_DEP_3)
	v_lshlrev_b32_e32 v23, 24, v23
	v_sub_nc_u32_e32 v70, 0, v69
	s_delay_alu instid0(VALU_DEP_1) | instskip(NEXT) | instid1(VALU_DEP_4)
	v_cndmask_b32_e64 v69, v69, v70, s13
	v_add_co_ci_u32_e64 v70, vcc_lo, 0, v82, s19
	v_add_co_u32 v16, vcc_lo, v16, v134
	s_delay_alu instid0(VALU_DEP_3) | instskip(NEXT) | instid1(VALU_DEP_3)
	v_lshlrev_b32_e32 v69, 8, v69
	v_sub_nc_u32_e32 v71, 0, v70
	v_add_co_ci_u32_e32 v17, vcc_lo, v17, v135, vcc_lo
	v_add_co_u32 v18, vcc_lo, v18, v134
	s_delay_alu instid0(VALU_DEP_3) | instskip(SKIP_3) | instid1(VALU_DEP_4)
	v_cndmask_b32_e64 v70, v70, v71, s14
	v_perm_b32 v15, v69, v15, 0xc0c0500
	v_add_co_ci_u32_e32 v19, vcc_lo, v19, v135, vcc_lo
	v_cmp_gt_i32_e32 vcc_lo, 1, v2
	v_and_b32_e32 v69, 0xff, v70
	s_or_b32 s29, vcc_lo, s29
	s_delay_alu instid0(VALU_DEP_1) | instskip(NEXT) | instid1(VALU_DEP_1)
	v_lshlrev_b32_e32 v69, 16, v69
	v_or3_b32 v15, v23, v69, v15
	s_clause 0x1
	global_store_b128 v[20:21], v[8:11], off offset:1024 glc slc dlc
	global_store_b128 v[20:21], v[12:15], off offset:1536 glc slc dlc
	v_add_co_u32 v20, s13, v20, v134
	s_delay_alu instid0(VALU_DEP_1)
	v_add_co_ci_u32_e64 v21, s13, v21, v135, s13
	s_and_not1_b32 exec_lo, exec_lo, s29
	s_cbranch_execnz .LBB6_693
; %bb.694:                              ;   in Loop: Header=BB6_558 Depth=2
	s_or_b32 exec_lo, exec_lo, s29
.LBB6_695:                              ;   in Loop: Header=BB6_558 Depth=2
	s_delay_alu instid0(SALU_CYCLE_1) | instskip(SKIP_2) | instid1(VALU_DEP_1)
	s_or_b32 exec_lo, exec_lo, s28
	v_lshlrev_b32_e32 v14, 11, v22
	s_mov_b32 s35, exec_lo
                                        ; implicit-def: $vgpr17
                                        ; implicit-def: $vgpr16
                                        ; implicit-def: $vgpr18
                                        ; implicit-def: $vgpr8
	v_cmpx_ne_u32_e64 v151, v14
	s_cbranch_execz .LBB6_704
; %bb.696:                              ;   in Loop: Header=BB6_558 Depth=2
	v_lshlrev_b32_e32 v2, 5, v2
	v_sub_nc_u32_e32 v9, v151, v14
	s_mov_b32 s36, exec_lo
	s_delay_alu instid0(VALU_DEP_2) | instskip(NEXT) | instid1(VALU_DEP_2)
	v_sub_nc_u32_e32 v2, v99, v2
	v_ashrrev_i32_e32 v10, 31, v9
	s_delay_alu instid0(VALU_DEP_2) | instskip(NEXT) | instid1(VALU_DEP_2)
	v_ashrrev_i32_e32 v8, 31, v2
	v_lshrrev_b32_e32 v10, 23, v10
	s_delay_alu instid0(VALU_DEP_2) | instskip(NEXT) | instid1(VALU_DEP_2)
	v_lshrrev_b32_e32 v8, 27, v8
	v_add_nc_u32_e32 v10, v9, v10
	s_delay_alu instid0(VALU_DEP_2) | instskip(NEXT) | instid1(VALU_DEP_1)
	v_add_nc_u32_e32 v8, v2, v8
	v_and_b32_e32 v11, 0xffffffe0, v8
	s_delay_alu instid0(VALU_DEP_1) | instskip(NEXT) | instid1(VALU_DEP_4)
	v_sub_nc_u32_e32 v15, v2, v11
	v_and_b32_e32 v2, 0xfffffe00, v10
	v_ashrrev_i32_e32 v11, 5, v8
	v_ashrrev_i32_e32 v10, 9, v10
	s_delay_alu instid0(VALU_DEP_4) | instskip(NEXT) | instid1(VALU_DEP_4)
	v_lshlrev_b32_e32 v8, 4, v15
	v_sub_nc_u32_e32 v19, v9, v2
	s_delay_alu instid0(VALU_DEP_2) | instskip(NEXT) | instid1(VALU_DEP_2)
	v_lshl_add_u32 v8, v11, 9, v8
	v_cmp_lt_i32_e32 vcc_lo, 15, v19
	s_delay_alu instid0(VALU_DEP_2) | instskip(SKIP_1) | instid1(VALU_DEP_1)
	v_sub_nc_u32_e32 v16, v9, v8
	v_add_co_ci_u32_e64 v10, s13, 0, v10, vcc_lo
	v_sub_nc_u32_e32 v20, v10, v11
	s_delay_alu instid0(VALU_DEP_3)
	v_cmpx_lt_i32_e32 15, v16
	s_cbranch_execz .LBB6_701
; %bb.697:                              ;   in Loop: Header=BB6_558 Depth=2
	v_cvt_f32_u32_e32 v9, s30
	s_sub_i32 s14, 0, s30
	s_mov_b32 s37, 0
	s_delay_alu instid0(VALU_DEP_1) | instskip(SKIP_2) | instid1(VALU_DEP_1)
	v_rcp_iflag_f32_e32 v9, v9
	s_waitcnt_depctr 0xfff
	v_mul_f32_e32 v9, 0x4f7ffffe, v9
	v_cvt_u32_f32_e32 v9, v9
	s_delay_alu instid0(VALU_DEP_1) | instskip(NEXT) | instid1(VALU_DEP_1)
	v_readfirstlane_b32 s13, v9
	s_mul_i32 s14, s14, s13
	s_delay_alu instid0(SALU_CYCLE_1) | instskip(NEXT) | instid1(SALU_CYCLE_1)
	s_mul_hi_u32 s14, s13, s14
	s_add_i32 s13, s13, s14
	s_delay_alu instid0(SALU_CYCLE_1) | instskip(NEXT) | instid1(SALU_CYCLE_1)
	s_mul_hi_u32 s13, s13, -1
	s_mul_i32 s14, s13, s30
	s_add_i32 s15, s13, 1
	s_not_b32 s14, s14
	s_delay_alu instid0(SALU_CYCLE_1)
	s_sub_i32 s16, s14, s30
	s_cmp_ge_u32 s14, s30
	s_cselect_b32 s13, s15, s13
	s_cselect_b32 s14, s16, s14
	s_add_i32 s15, s13, 1
	s_cmp_ge_u32 s14, s30
	s_cselect_b32 s38, s15, s13
	s_cbranch_execnz .LBB6_1836
; %bb.698:                              ;   in Loop: Header=BB6_558 Depth=2
	ds_load_b128 v[9:12], v0
	ds_load_b64 v[17:18], v0
	v_add_nc_u32_e32 v13, v8, v14
	s_cmp_lt_i32 s31, 0
	s_cselect_b32 s39, -1, 0
	s_delay_alu instid0(VALU_DEP_1) | instskip(SKIP_2) | instid1(VALU_DEP_1)
	v_ashrrev_i32_e32 v21, 31, v13
	s_waitcnt lgkmcnt(1)
	v_add_co_u32 v8, s13, v9, v13
	v_add_co_ci_u32_e64 v9, s13, v10, v21, s13
	v_add_co_u32 v10, s13, v11, v13
	s_delay_alu instid0(VALU_DEP_1) | instskip(SKIP_2) | instid1(VALU_DEP_1)
	v_add_co_ci_u32_e64 v11, s13, v12, v21, s13
	s_waitcnt lgkmcnt(0)
	v_add_co_u32 v12, s13, v17, v13
	v_add_co_ci_u32_e64 v13, s13, v18, v21, s13
.LBB6_699:                              ;   Parent Loop BB6_51 Depth=1
                                        ;     Parent Loop BB6_558 Depth=2
                                        ; =>    This Inner Loop Header: Depth=3
	global_load_b128 v[80:83], v[8:9], off slc dlc
	global_load_b128 v[160:163], v[10:11], off slc dlc
	v_add_co_u32 v8, s13, v8, v116
	v_sub_nc_u32_e32 v16, v16, v100
	v_add_co_ci_u32_e64 v9, s13, v9, v117, s13
	v_add_co_u32 v10, s13, v10, v116
	s_delay_alu instid0(VALU_DEP_1) | instskip(NEXT) | instid1(VALU_DEP_4)
	v_add_co_ci_u32_e64 v11, s13, v11, v117, s13
	v_cmp_gt_i32_e64 s13, 16, v16
	v_sub_nc_u32_e32 v20, v20, v97
	s_waitcnt vmcnt(1)
	v_and_b32_e32 v17, 0xff00ff, v80
	s_waitcnt vmcnt(0)
	v_and_b32_e32 v18, 0xff00ff, v160
	v_and_b32_e32 v21, 0xff00ff00, v80
	;; [unrolled: 1-line block ×8, first 2 shown]
	v_add_co_u32 v17, null, v18, v17
	v_and_b32_e32 v70, 0xff00ff00, v81
	v_and_b32_e32 v81, 0xff00ff, v162
	v_add_nc_u32_e32 v18, v22, v21
	v_add_co_u32 v21, null, v69, v23
	v_add_nc_u32_e32 v69, v84, v82
	v_bfe_i32 v84, v17, 0, 8
	v_and_b32_e32 v71, 0xff00ff00, v161
	v_and_b32_e32 v85, 0xff00ff, v83
	;; [unrolled: 1-line block ×3, first 2 shown]
	v_add_co_u32 v23, null, v81, v80
	v_perm_b32 v80, v18, v17, 0x7020500
	v_cmp_gt_i16_e64 s14, 0, v84
	v_and_b32_e32 v83, 0xff00ff00, v83
	v_and_b32_e32 v161, 0xff00ff00, v163
	v_add_nc_u32_e32 v22, v71, v70
	v_add_co_u32 v70, null, v160, v85
	v_sub_nc_u16 v85, 0, v17
	v_lshrrev_b32_e32 v160, 8, v18
	v_lshrrev_b32_e32 v18, 24, v18
	v_and_b32_e32 v84, 0x8000, v80
	v_and_b32_e32 v80, s31, v80
	s_and_b32 s14, s39, s14
	v_add_nc_u32_e32 v71, v161, v83
	v_perm_b32 v81, v22, v21, 0x7020500
	v_lshrrev_b32_e32 v161, 16, v17
	v_bfe_i32 v162, v21, 0, 8
	v_cndmask_b32_e64 v17, v17, v85, s14
	v_sub_nc_u16 v41, 0, v18
	v_cmp_lt_i32_e64 s20, -1, v80
	v_sub_nc_u16 v163, 0, v21
	v_cmp_gt_i16_e64 s15, 0, v162
	v_and_b32_e32 v162, 0x8000, v81
	v_and_b32_e32 v17, 0xff, v17
	v_cndmask_b32_e64 v18, v41, v18, s20
	v_perm_b32 v82, v69, v23, 0x7020500
	v_lshrrev_b32_e32 v164, 8, v22
	v_lshrrev_b32_e32 v22, 24, v22
	v_bfe_i32 v166, v23, 0, 8
	v_and_b32_e32 v81, s31, v81
	s_and_b32 s15, s39, s15
	v_cmp_ne_u32_e64 s21, 0, v162
	v_mul_hi_u32 v162, v17, s38
	v_lshrrev_b32_e32 v165, 16, v21
	v_and_b32_e32 v18, 0xff, v18
	v_cndmask_b32_e64 v21, v21, v163, s15
	v_sub_nc_u16 v42, 0, v164
	v_sub_nc_u16 v45, 0, v22
	v_cmp_gt_i16_e64 s16, 0, v166
	v_and_b32_e32 v166, 0x8000, v82
	v_and_b32_e32 v82, s31, v82
	v_cmp_lt_i32_e64 s23, -1, v81
	v_bfe_i32 v43, v165, 0, 8
	s_and_b32 s21, s39, s21
	v_mul_hi_u32 v163, v18, s38
	v_and_b32_e32 v21, 0xff, v21
	v_perm_b32 v83, v71, v70, 0x7020500
	v_bfe_i32 v178, v70, 0, 8
	v_cndmask_b32_e64 v22, v45, v22, s23
	v_cmp_lt_i32_e64 s26, -1, v82
	v_cndmask_b32_e64 v82, v164, v42, s21
	v_mul_lo_u32 v42, s30, v162
	v_sub_nc_u16 v167, 0, v23
	v_lshrrev_b32_e32 v176, 8, v69
	v_lshrrev_b32_e32 v69, 24, v69
	v_cmp_gt_i16_e64 s22, 0, v43
	s_and_b32 s16, s39, s16
	v_mul_hi_u32 v164, v21, s38
	v_sub_nc_u16 v44, 0, v165
	v_cmp_gt_i16_e64 s17, 0, v178
	v_and_b32_e32 v178, 0x8000, v83
	v_and_b32_e32 v83, s31, v83
	;; [unrolled: 1-line block ×3, first 2 shown]
	v_lshrrev_b32_e32 v177, 16, v23
	v_cndmask_b32_e64 v23, v23, v167, s16
	v_mul_lo_u32 v43, s30, v163
	v_sub_nc_u16 v57, 0, v69
	s_and_b32 s22, s39, s22
	v_sub_nc_u32_e32 v17, v17, v42
	v_cmp_lt_i32_e64 s29, -1, v83
	v_cndmask_b32_e64 v83, v165, v44, s22
	v_mul_hi_u32 v165, v22, s38
	v_and_b32_e32 v23, 0xff, v23
	v_cndmask_b32_e64 v69, v57, v69, s26
	v_mul_lo_u32 v44, s30, v164
	v_sub_nc_u16 v179, 0, v70
	v_cmp_le_u32_e64 vcc_hi, s30, v17
	v_lshrrev_b32_e32 v180, 8, v71
	v_lshrrev_b32_e32 v71, 24, v71
	v_sub_nc_u32_e32 v18, v18, v43
	v_cmp_ne_u32_e64 s24, 0, v166
	s_and_b32 s17, s39, s17
	v_mul_hi_u32 v166, v23, s38
	v_and_b32_e32 v69, 0xff, v69
	v_lshrrev_b32_e32 v181, 16, v70
	v_cndmask_b32_e64 v70, v70, v179, s17
	v_mul_lo_u32 v45, s30, v165
	v_add_co_ci_u32_e64 v17, vcc_hi, 0, v162, vcc_hi
	v_sub_nc_u16 v46, 0, v176
	v_sub_nc_u16 v61, 0, v71
	v_cmp_le_u32_e64 vcc_hi, s30, v18
	v_sub_nc_u32_e32 v21, v21, v44
	v_bfe_i32 v47, v177, 0, 8
	s_and_b32 s24, s39, s24
	v_mul_hi_u32 v167, v69, s38
	v_cmp_ne_u32_e64 s18, 0, v84
	v_and_b32_e32 v70, 0xff, v70
	v_bfe_i32 v183, v161, 0, 8
	v_cndmask_b32_e64 v71, v61, v71, s29
	v_cndmask_b32_e64 v84, v176, v46, s24
	v_mul_lo_u32 v46, s30, v166
	v_add_co_ci_u32_e64 v18, vcc_hi, 0, v163, vcc_hi
	v_sub_nc_u16 v182, 0, v160
	v_cmp_le_u32_e64 vcc_hi, s30, v21
	v_sub_nc_u32_e32 v22, v22, v45
	v_cmp_gt_i16_e64 s25, 0, v47
	s_and_b32 s18, s39, s18
	v_mul_hi_u32 v176, v70, s38
	v_sub_nc_u16 v56, 0, v177
	v_cmp_gt_i16_e64 s19, 0, v183
	v_and_b32_e32 v71, 0xff, v71
	v_cndmask_b32_e64 v80, v160, v182, s18
	v_mul_lo_u32 v47, s30, v167
	v_add_co_ci_u32_e64 v21, vcc_hi, 0, v164, vcc_hi
	v_sub_nc_u16 v40, 0, v161
	v_cmp_le_u32_e64 vcc_hi, s30, v22
	s_and_b32 s25, s39, s25
	v_sub_nc_u32_e32 v23, v23, v46
	s_and_b32 s19, s39, s19
	v_cndmask_b32_e64 v85, v177, v56, s25
	v_mul_hi_u32 v177, v71, s38
	v_and_b32_e32 v80, 0xff, v80
	v_cndmask_b32_e64 v81, v161, v40, s19
	v_mul_lo_u32 v56, s30, v176
	v_add_co_ci_u32_e64 v22, vcc_hi, 0, v165, vcc_hi
	v_cmp_le_u32_e64 vcc_hi, s30, v23
	v_sub_nc_u32_e32 v69, v69, v47
	v_cmp_ne_u32_e64 s27, 0, v178
	v_mul_hi_u32 v178, v80, s38
	v_and_b32_e32 v81, 0xff, v81
	v_mul_lo_u32 v57, s30, v177
	v_add_co_ci_u32_e64 v23, vcc_hi, 0, v166, vcc_hi
	v_sub_nc_u16 v58, 0, v180
	v_cmp_le_u32_e64 vcc_hi, s30, v69
	v_sub_nc_u32_e32 v70, v70, v56
	v_bfe_i32 v59, v181, 0, 8
	s_and_b32 s27, s39, s27
	v_mul_hi_u32 v179, v81, s38
	v_and_b32_e32 v82, 0xff, v82
	v_cndmask_b32_e64 v160, v180, v58, s27
	v_mul_lo_u32 v58, s30, v178
	v_add_co_ci_u32_e64 v69, vcc_hi, 0, v167, vcc_hi
	v_cmp_le_u32_e64 vcc_hi, s30, v70
	v_sub_nc_u32_e32 v71, v71, v57
	v_cmp_gt_i16_e64 s28, 0, v59
	v_mul_hi_u32 v180, v82, s38
	v_sub_nc_u16 v60, 0, v181
	v_and_b32_e32 v83, 0xff, v83
	v_mul_lo_u32 v59, s30, v179
	v_add_co_ci_u32_e64 v70, vcc_hi, 0, v176, vcc_hi
	v_cmp_le_u32_e64 vcc_hi, s30, v71
	s_and_b32 s28, s39, s28
	v_sub_nc_u32_e32 v80, v80, v58
	v_cndmask_b32_e64 v161, v181, v60, s28
	v_mul_hi_u32 v181, v83, s38
	v_and_b32_e32 v84, 0xff, v84
	v_mul_lo_u32 v60, s30, v180
	v_add_co_ci_u32_e64 v71, vcc_hi, 0, v177, vcc_hi
	v_cmp_le_u32_e64 vcc_hi, s30, v80
	v_sub_nc_u32_e32 v81, v81, v59
	v_mul_hi_u32 v182, v84, s38
	v_and_b32_e32 v85, 0xff, v85
	v_mul_lo_u32 v61, s30, v181
	v_add_co_ci_u32_e64 v80, vcc_hi, 0, v178, vcc_hi
	v_cmp_le_u32_e64 vcc_hi, s30, v81
	v_sub_nc_u32_e32 v82, v82, v60
	;; [unrolled: 6-line block ×4, first 2 shown]
	v_mul_hi_u32 v41, v161, s38
	v_mul_lo_u32 v72, s30, v40
	v_sub_nc_u32_e32 v162, 0, v17
	v_add_co_ci_u32_e64 v83, vcc_hi, 0, v181, vcc_hi
	v_cmp_le_u32_e64 vcc_hi, s30, v84
	v_sub_nc_u32_e32 v85, v85, v63
	v_sub_nc_u32_e32 v163, 0, v18
	v_mul_lo_u32 v73, s30, v41
	v_sub_nc_u32_e32 v160, v160, v72
	v_add_co_ci_u32_e64 v84, vcc_hi, 0, v182, vcc_hi
	v_cmp_le_u32_e64 vcc_hi, s30, v85
	v_sub_nc_u32_e32 v164, 0, v21
	v_sub_nc_u32_e32 v165, 0, v22
	;; [unrolled: 1-line block ×4, first 2 shown]
	v_add_co_ci_u32_e64 v85, vcc_hi, 0, v183, vcc_hi
	v_cmp_le_u32_e64 vcc_hi, s30, v160
	v_sub_nc_u32_e32 v167, 0, v69
	v_sub_nc_u32_e32 v176, 0, v70
	v_cndmask_b32_e64 v17, v17, v162, s14
	v_sub_nc_u32_e32 v162, 0, v80
	v_add_co_ci_u32_e64 v160, vcc_hi, 0, v40, vcc_hi
	v_cmp_le_u32_e64 vcc_hi, s30, v161
	v_sub_nc_u32_e32 v178, 0, v81
	v_cndmask_b32_e64 v18, v163, v18, s20
	v_cndmask_b32_e64 v21, v21, v164, s15
	v_sub_nc_u32_e32 v163, 0, v82
	v_add_co_ci_u32_e64 v161, vcc_hi, 0, v41, vcc_hi
	v_sub_nc_u32_e32 v164, 0, v83
	v_cndmask_b32_e64 v22, v165, v22, s23
	v_cndmask_b32_e64 v23, v23, v166, s16
	v_sub_nc_u32_e32 v165, 0, v84
	v_sub_nc_u32_e32 v166, 0, v85
	v_cndmask_b32_e64 v69, v167, v69, s26
	v_cndmask_b32_e64 v70, v70, v176, s17
	v_sub_nc_u32_e32 v167, 0, v160
	v_sub_nc_u32_e32 v176, 0, v161
	;; [unrolled: 1-line block ×3, first 2 shown]
	v_cndmask_b32_e64 v80, v80, v162, s18
	v_cndmask_b32_e64 v81, v81, v178, s19
	;; [unrolled: 1-line block ×9, first 2 shown]
	v_lshlrev_b32_e32 v80, 8, v80
	v_and_b32_e32 v81, 0xff, v81
	v_lshlrev_b32_e32 v82, 8, v82
	v_and_b32_e32 v83, 0xff, v83
	;; [unrolled: 2-line block ×4, first 2 shown]
	v_lshlrev_b32_e32 v18, 24, v18
	v_lshlrev_b32_e32 v22, 24, v22
	;; [unrolled: 1-line block ×5, first 2 shown]
	v_perm_b32 v17, v80, v17, 0xc0c0500
	v_lshlrev_b32_e32 v83, 16, v83
	v_perm_b32 v21, v82, v21, 0xc0c0500
	v_lshlrev_b32_e32 v82, 16, v85
	;; [unrolled: 2-line block ×3, first 2 shown]
	v_perm_b32 v70, v160, v70, 0xc0c0500
	v_or3_b32 v80, v18, v81, v17
	v_or3_b32 v81, v22, v83, v21
	;; [unrolled: 1-line block ×3, first 2 shown]
	s_or_b32 s37, s13, s37
	v_or3_b32 v83, v71, v84, v70
	global_store_b128 v[12:13], v[80:83], off glc slc dlc
	v_add_co_u32 v12, s14, v12, v116
	s_delay_alu instid0(VALU_DEP_1)
	v_add_co_ci_u32_e64 v13, s14, v13, v117, s14
	s_and_not1_b32 exec_lo, exec_lo, s37
	s_cbranch_execnz .LBB6_699
; %bb.700:                              ;   in Loop: Header=BB6_558 Depth=2
	s_or_b32 exec_lo, exec_lo, s37
.LBB6_701:                              ;   in Loop: Header=BB6_558 Depth=2
	s_delay_alu instid0(SALU_CYCLE_1) | instskip(SKIP_3) | instid1(VALU_DEP_1)
	s_or_b32 exec_lo, exec_lo, s36
	v_and_b32_e32 v9, 15, v151
	s_mov_b32 s14, s34
	s_mov_b32 s15, exec_lo
                                        ; implicit-def: $vgpr16
                                        ; implicit-def: $vgpr18
                                        ; implicit-def: $vgpr8
	v_cndmask_b32_e32 v17, v19, v9, vcc_lo
	s_delay_alu instid0(VALU_DEP_1)
	v_cmpx_ne_u32_e32 0, v17
; %bb.702:                              ;   in Loop: Header=BB6_558 Depth=2
	v_cmp_lt_i32_e64 s13, 0, v20
	v_sub_nc_u32_e32 v9, v19, v9
	s_or_b32 s14, s34, exec_lo
	s_delay_alu instid0(VALU_DEP_2) | instskip(NEXT) | instid1(VALU_DEP_1)
	v_cndmask_b32_e64 v8, 0, v97, s13
	v_sub_nc_u32_e32 v8, v8, v20
	s_delay_alu instid0(VALU_DEP_1) | instskip(NEXT) | instid1(VALU_DEP_1)
	v_lshl_add_u32 v18, v8, 5, v15
	v_ashrrev_i32_e32 v8, 31, v18
	s_delay_alu instid0(VALU_DEP_1) | instskip(NEXT) | instid1(VALU_DEP_1)
	v_lshrrev_b32_e32 v8, 27, v8
	v_dual_cndmask_b32 v9, 0, v9 :: v_dual_add_nc_u32 v8, v18, v8
	s_delay_alu instid0(VALU_DEP_1) | instskip(NEXT) | instid1(VALU_DEP_2)
	v_add3_u32 v16, v2, v14, v9
	v_ashrrev_i32_e32 v8, 5, v8
; %bb.703:                              ;   in Loop: Header=BB6_558 Depth=2
	s_or_b32 exec_lo, exec_lo, s15
	s_delay_alu instid0(SALU_CYCLE_1) | instskip(SKIP_1) | instid1(SALU_CYCLE_1)
	s_and_not1_b32 s13, s34, exec_lo
	s_and_b32 s14, s14, exec_lo
	s_or_b32 s34, s13, s14
.LBB6_704:                              ;   in Loop: Header=BB6_558 Depth=2
	s_or_b32 exec_lo, exec_lo, s35
	s_branch .LBB6_706
.LBB6_705:                              ;   in Loop: Header=BB6_558 Depth=2
	v_dual_mov_b32 v16, s14 :: v_dual_mov_b32 v17, v151
	v_mov_b32_e32 v18, v0
	v_mov_b32_e32 v8, v98
.LBB6_706:                              ;   in Loop: Header=BB6_558 Depth=2
	s_and_saveexec_b32 s15, s34
	s_cbranch_execz .LBB6_718
; %bb.707:                              ;   in Loop: Header=BB6_558 Depth=2
	v_ashrrev_i32_e32 v2, 31, v17
	s_mov_b32 s16, exec_lo
	s_delay_alu instid0(VALU_DEP_1) | instskip(NEXT) | instid1(VALU_DEP_1)
	v_lshrrev_b32_e32 v2, 22, v2
	v_add_nc_u32_e32 v2, v17, v2
	s_delay_alu instid0(VALU_DEP_1) | instskip(NEXT) | instid1(VALU_DEP_1)
	v_ashrrev_i32_e32 v19, 10, v2
	v_sub_nc_u32_e32 v2, v19, v8
	s_delay_alu instid0(VALU_DEP_1)
	v_cmpx_lt_i32_e32 0, v2
	s_cbranch_execz .LBB6_712
; %bb.708:                              ;   in Loop: Header=BB6_558 Depth=2
	v_cvt_f32_u32_e32 v9, s30
	s_sub_i32 s14, 0, s30
	s_delay_alu instid0(VALU_DEP_1) | instskip(SKIP_2) | instid1(VALU_DEP_1)
	v_rcp_iflag_f32_e32 v9, v9
	s_waitcnt_depctr 0xfff
	v_mul_f32_e32 v9, 0x4f7ffffe, v9
	v_cvt_u32_f32_e32 v9, v9
	s_delay_alu instid0(VALU_DEP_1) | instskip(NEXT) | instid1(VALU_DEP_1)
	v_readfirstlane_b32 s13, v9
	s_mul_i32 s14, s14, s13
	s_delay_alu instid0(SALU_CYCLE_1) | instskip(NEXT) | instid1(SALU_CYCLE_1)
	s_mul_hi_u32 s14, s13, s14
	s_add_i32 s13, s13, s14
	s_delay_alu instid0(SALU_CYCLE_1) | instskip(NEXT) | instid1(SALU_CYCLE_1)
	s_mul_hi_u32 s13, s13, -1
	s_mul_i32 s14, s13, s30
	s_add_i32 s17, s13, 1
	s_not_b32 s14, s14
	s_delay_alu instid0(SALU_CYCLE_1)
	s_sub_i32 s18, s14, s30
	s_cmp_ge_u32 s14, s30
	s_cselect_b32 s13, s17, s13
	s_cselect_b32 s14, s18, s14
	s_add_i32 s18, s13, 1
	s_cmp_ge_u32 s14, s30
	s_mov_b32 s17, 0
	s_cselect_b32 s18, s18, s13
	s_cbranch_execnz .LBB6_1782
; %bb.709:                              ;   in Loop: Header=BB6_558 Depth=2
	v_ashrrev_i32_e32 v9, 31, v18
	ds_load_b64 v[13:14], v0
	v_lshlrev_b32_e32 v8, 10, v8
	s_cmp_lt_i32 s31, 0
	s_cselect_b32 s19, -1, 0
	v_lshrrev_b32_e32 v9, 27, v9
	s_delay_alu instid0(VALU_DEP_1) | instskip(NEXT) | instid1(VALU_DEP_1)
	v_add_nc_u32_e32 v9, v18, v9
	v_and_b32_e32 v15, 0xffffffe0, v9
	ds_load_b128 v[9:12], v0
	v_sub_nc_u32_e32 v15, v18, v15
	s_waitcnt lgkmcnt(1)
	v_add_co_u32 v13, vcc_lo, 0x3e0, v13
	v_add_co_ci_u32_e32 v14, vcc_lo, 0, v14, vcc_lo
	s_delay_alu instid0(VALU_DEP_3) | instskip(NEXT) | instid1(VALU_DEP_1)
	v_add3_u32 v15, v16, v15, v8
	v_ashrrev_i32_e32 v20, 31, v15
	s_waitcnt lgkmcnt(0)
	v_add_co_u32 v8, vcc_lo, v9, v15
	s_delay_alu instid0(VALU_DEP_2)
	v_add_co_ci_u32_e32 v9, vcc_lo, v10, v20, vcc_lo
	v_add_co_u32 v10, vcc_lo, v11, v15
	v_add_co_ci_u32_e32 v11, vcc_lo, v12, v20, vcc_lo
	v_add_co_u32 v12, vcc_lo, v13, v15
	v_add_co_ci_u32_e32 v13, vcc_lo, v14, v20, vcc_lo
.LBB6_710:                              ;   Parent Loop BB6_51 Depth=1
                                        ;     Parent Loop BB6_558 Depth=2
                                        ; =>    This Inner Loop Header: Depth=3
	flat_load_u8 v14, v[8:9] slc dlc
	flat_load_u8 v15, v[10:11] slc dlc
	flat_load_u8 v21, v[8:9] offset:32 slc dlc
	flat_load_u8 v45, v[10:11] offset:32 slc dlc
	;; [unrolled: 1-line block ×8, first 2 shown]
	s_clause 0x1a
	flat_load_u8 v60, v[8:9] offset:160 slc dlc
	flat_load_u8 v61, v[8:9] offset:192 slc dlc
	;; [unrolled: 1-line block ×27, first 2 shown]
	s_clause 0x1a
	flat_load_u8 v77, v[10:11] offset:160 slc dlc
	flat_load_u8 v78, v[10:11] offset:192 slc dlc
	;; [unrolled: 1-line block ×27, first 2 shown]
	v_sub_nc_u32_e32 v2, v2, v97
	v_add_co_u32 v8, s14, v8, v119
	s_delay_alu instid0(VALU_DEP_1) | instskip(SKIP_2) | instid1(VALU_DEP_1)
	v_add_co_ci_u32_e64 v9, s14, v9, v128, s14
	s_waitcnt vmcnt(62) lgkmcnt(62)
	v_add_nc_u16 v14, v15, v14
	v_bfe_i32 v15, v14, 0, 8
	v_sub_nc_u16 v20, 0, v14
	s_delay_alu instid0(VALU_DEP_2) | instskip(SKIP_1) | instid1(VALU_DEP_2)
	v_cmp_gt_i16_e32 vcc_lo, 0, v15
	s_and_b32 vcc_lo, s19, vcc_lo
	v_cndmask_b32_e32 v14, v14, v20, vcc_lo
	s_delay_alu instid0(VALU_DEP_1) | instskip(NEXT) | instid1(VALU_DEP_1)
	v_and_b32_e32 v14, 0xff, v14
	v_mul_hi_u32 v15, v14, s18
	s_delay_alu instid0(VALU_DEP_1) | instskip(NEXT) | instid1(VALU_DEP_1)
	v_mul_lo_u32 v20, s30, v15
	v_sub_nc_u32_e32 v14, v14, v20
	s_delay_alu instid0(VALU_DEP_1) | instskip(NEXT) | instid1(VALU_DEP_1)
	v_cmp_le_u32_e64 s13, s30, v14
	v_add_co_ci_u32_e64 v14, s13, 0, v15, s13
	s_delay_alu instid0(VALU_DEP_1) | instskip(NEXT) | instid1(VALU_DEP_1)
	v_sub_nc_u32_e32 v15, 0, v14
	v_cndmask_b32_e32 v20, v14, v15, vcc_lo
	v_add_co_u32 v14, vcc_lo, 0xfffffc20, v12
	v_add_co_ci_u32_e32 v15, vcc_lo, -1, v13, vcc_lo
	flat_store_b8 v[14:15], v20 glc slc dlc
	s_waitcnt vmcnt(60) lgkmcnt(61)
	v_add_nc_u16 v14, v45, v21
	s_delay_alu instid0(VALU_DEP_1) | instskip(NEXT) | instid1(VALU_DEP_1)
	v_bfe_i32 v15, v14, 0, 8
	v_cmp_gt_i16_e32 vcc_lo, 0, v15
	v_sub_nc_u16 v15, 0, v14
	s_and_b32 vcc_lo, s19, vcc_lo
	s_delay_alu instid0(VALU_DEP_1) | instskip(NEXT) | instid1(VALU_DEP_1)
	v_cndmask_b32_e32 v14, v14, v15, vcc_lo
	v_and_b32_e32 v14, 0xff, v14
	s_delay_alu instid0(VALU_DEP_1) | instskip(NEXT) | instid1(VALU_DEP_1)
	v_mul_hi_u32 v15, v14, s18
	v_mul_lo_u32 v20, s30, v15
	s_delay_alu instid0(VALU_DEP_1) | instskip(NEXT) | instid1(VALU_DEP_1)
	v_sub_nc_u32_e32 v14, v14, v20
	v_cmp_le_u32_e64 s13, s30, v14
	s_delay_alu instid0(VALU_DEP_1) | instskip(NEXT) | instid1(VALU_DEP_1)
	v_add_co_ci_u32_e64 v14, s13, 0, v15, s13
	v_sub_nc_u32_e32 v15, 0, v14
	s_delay_alu instid0(VALU_DEP_1)
	v_cndmask_b32_e32 v20, v14, v15, vcc_lo
	v_add_co_u32 v14, vcc_lo, 0xfffffc40, v12
	v_add_co_ci_u32_e32 v15, vcc_lo, -1, v13, vcc_lo
	flat_store_b8 v[14:15], v20 glc slc dlc
	s_waitcnt vmcnt(58) lgkmcnt(60)
	v_add_nc_u16 v14, v47, v46
	s_delay_alu instid0(VALU_DEP_1) | instskip(NEXT) | instid1(VALU_DEP_1)
	v_bfe_i32 v15, v14, 0, 8
	v_cmp_gt_i16_e32 vcc_lo, 0, v15
	v_sub_nc_u16 v15, 0, v14
	s_and_b32 vcc_lo, s19, vcc_lo
	s_delay_alu instid0(VALU_DEP_1) | instskip(NEXT) | instid1(VALU_DEP_1)
	v_cndmask_b32_e32 v14, v14, v15, vcc_lo
	v_and_b32_e32 v14, 0xff, v14
	s_delay_alu instid0(VALU_DEP_1) | instskip(NEXT) | instid1(VALU_DEP_1)
	v_mul_hi_u32 v15, v14, s18
	v_mul_lo_u32 v20, s30, v15
	s_delay_alu instid0(VALU_DEP_1) | instskip(NEXT) | instid1(VALU_DEP_1)
	v_sub_nc_u32_e32 v14, v14, v20
	v_cmp_le_u32_e64 s13, s30, v14
	s_delay_alu instid0(VALU_DEP_1) | instskip(NEXT) | instid1(VALU_DEP_1)
	v_add_co_ci_u32_e64 v14, s13, 0, v15, s13
	v_sub_nc_u32_e32 v15, 0, v14
	s_delay_alu instid0(VALU_DEP_1)
	;; [unrolled: 24-line block ×30, first 2 shown]
	v_cndmask_b32_e32 v20, v14, v15, vcc_lo
	v_add_co_u32 v14, vcc_lo, 0xffffffe0, v12
	v_add_co_ci_u32_e32 v15, vcc_lo, -1, v13, vcc_lo
	flat_store_b8 v[14:15], v20 glc slc dlc
	s_waitcnt vmcnt(0) lgkmcnt(31)
	v_add_nc_u16 v14, v70, v22
	s_delay_alu instid0(VALU_DEP_1) | instskip(NEXT) | instid1(VALU_DEP_1)
	v_bfe_i32 v15, v14, 0, 8
	v_cmp_gt_i16_e32 vcc_lo, 0, v15
	v_sub_nc_u16 v15, 0, v14
	s_and_b32 vcc_lo, s19, vcc_lo
	s_delay_alu instid0(VALU_DEP_1) | instskip(NEXT) | instid1(VALU_DEP_1)
	v_cndmask_b32_e32 v14, v14, v15, vcc_lo
	v_and_b32_e32 v14, 0xff, v14
	s_delay_alu instid0(VALU_DEP_1) | instskip(NEXT) | instid1(VALU_DEP_1)
	v_mul_hi_u32 v15, v14, s18
	v_mul_lo_u32 v20, s30, v15
	s_delay_alu instid0(VALU_DEP_1) | instskip(NEXT) | instid1(VALU_DEP_1)
	v_sub_nc_u32_e32 v14, v14, v20
	v_cmp_le_u32_e64 s13, s30, v14
	s_delay_alu instid0(VALU_DEP_1) | instskip(SKIP_1) | instid1(VALU_DEP_2)
	v_add_co_ci_u32_e64 v14, s13, 0, v15, s13
	v_add_co_u32 v10, s13, v10, v119
	v_sub_nc_u32_e32 v15, 0, v14
	s_delay_alu instid0(VALU_DEP_1) | instskip(SKIP_4) | instid1(VALU_DEP_1)
	v_cndmask_b32_e32 v14, v14, v15, vcc_lo
	v_add_co_ci_u32_e64 v11, vcc_lo, v11, v128, s13
	v_cmp_gt_i32_e32 vcc_lo, 1, v2
	flat_store_b8 v[12:13], v14 glc slc dlc
	v_add_co_u32 v12, s13, v12, v119
	v_add_co_ci_u32_e64 v13, s13, v13, v128, s13
	s_or_b32 s17, vcc_lo, s17
	s_delay_alu instid0(SALU_CYCLE_1)
	s_and_not1_b32 exec_lo, exec_lo, s17
	s_cbranch_execnz .LBB6_710
; %bb.711:                              ;   in Loop: Header=BB6_558 Depth=2
	s_or_b32 exec_lo, exec_lo, s17
.LBB6_712:                              ;   in Loop: Header=BB6_558 Depth=2
	s_delay_alu instid0(SALU_CYCLE_1) | instskip(SKIP_2) | instid1(VALU_DEP_1)
	s_or_b32 exec_lo, exec_lo, s16
	v_lshlrev_b32_e32 v8, 10, v19
	s_mov_b32 s16, exec_lo
	v_cmpx_ne_u32_e64 v17, v8
	s_cbranch_execz .LBB6_717
; %bb.713:                              ;   in Loop: Header=BB6_558 Depth=2
	v_ashrrev_i32_e32 v9, 31, v18
	v_lshlrev_b32_e32 v2, 5, v2
	s_delay_alu instid0(VALU_DEP_2) | instskip(NEXT) | instid1(VALU_DEP_1)
	v_lshrrev_b32_e32 v9, 27, v9
	v_add_nc_u32_e32 v9, v18, v9
	s_delay_alu instid0(VALU_DEP_1) | instskip(NEXT) | instid1(VALU_DEP_1)
	v_and_b32_e32 v9, 0xffffffe0, v9
	v_sub_nc_u32_e32 v9, v18, v9
	s_delay_alu instid0(VALU_DEP_1) | instskip(NEXT) | instid1(VALU_DEP_1)
	v_sub_nc_u32_e32 v2, v9, v2
	v_add_nc_u32_e32 v8, v8, v2
	s_delay_alu instid0(VALU_DEP_1) | instskip(NEXT) | instid1(VALU_DEP_1)
	v_sub_nc_u32_e32 v2, v17, v8
	v_cmp_lt_i32_e32 vcc_lo, 0, v2
	s_and_b32 exec_lo, exec_lo, vcc_lo
	s_cbranch_execz .LBB6_717
; %bb.714:                              ;   in Loop: Header=BB6_558 Depth=2
	v_cvt_f32_u32_e32 v9, s30
	s_sub_i32 s14, 0, s30
	s_delay_alu instid0(VALU_DEP_1) | instskip(SKIP_2) | instid1(VALU_DEP_1)
	v_rcp_iflag_f32_e32 v9, v9
	s_waitcnt_depctr 0xfff
	v_mul_f32_e32 v9, 0x4f7ffffe, v9
	v_cvt_u32_f32_e32 v9, v9
	s_delay_alu instid0(VALU_DEP_1) | instskip(NEXT) | instid1(VALU_DEP_1)
	v_readfirstlane_b32 s13, v9
	s_mul_i32 s14, s14, s13
	s_delay_alu instid0(SALU_CYCLE_1) | instskip(NEXT) | instid1(SALU_CYCLE_1)
	s_mul_hi_u32 s14, s13, s14
	s_add_i32 s13, s13, s14
	s_delay_alu instid0(SALU_CYCLE_1) | instskip(NEXT) | instid1(SALU_CYCLE_1)
	s_mul_hi_u32 s13, s13, -1
	s_mul_i32 s14, s13, s30
	s_add_i32 s17, s13, 1
	s_not_b32 s14, s14
	s_delay_alu instid0(SALU_CYCLE_1)
	s_sub_i32 s18, s14, s30
	s_cmp_ge_u32 s14, s30
	s_cselect_b32 s13, s17, s13
	s_cselect_b32 s14, s18, s14
	s_add_i32 s18, s13, 1
	s_cmp_ge_u32 s14, s30
	s_mov_b32 s17, 0
	s_cselect_b32 s18, s18, s13
	s_cbranch_execnz .LBB6_1844
; %bb.715:                              ;   in Loop: Header=BB6_558 Depth=2
	ds_load_b128 v[9:12], v0
	ds_load_b64 v[13:14], v0
	v_add_nc_u32_e32 v15, v8, v16
	s_cmp_lt_i32 s31, 0
	s_cselect_b32 s19, -1, 0
	s_delay_alu instid0(VALU_DEP_1) | instskip(SKIP_2) | instid1(VALU_DEP_2)
	v_ashrrev_i32_e32 v16, 31, v15
	s_waitcnt lgkmcnt(1)
	v_add_co_u32 v8, vcc_lo, v9, v15
	v_add_co_ci_u32_e32 v9, vcc_lo, v10, v16, vcc_lo
	v_add_co_u32 v10, vcc_lo, v11, v15
	v_add_co_ci_u32_e32 v11, vcc_lo, v12, v16, vcc_lo
	s_waitcnt lgkmcnt(0)
	v_add_co_u32 v12, vcc_lo, v13, v15
	v_add_co_ci_u32_e32 v13, vcc_lo, v14, v16, vcc_lo
	s_set_inst_prefetch_distance 0x1
.LBB6_716:                              ;   Parent Loop BB6_51 Depth=1
                                        ;     Parent Loop BB6_558 Depth=2
                                        ; =>    This Inner Loop Header: Depth=3
	flat_load_u8 v14, v[8:9] slc dlc
	flat_load_u8 v15, v[10:11] slc dlc
	v_add_co_u32 v8, vcc_lo, v8, v130
	v_add_co_ci_u32_e32 v9, vcc_lo, v9, v131, vcc_lo
	v_add_co_u32 v10, vcc_lo, v10, v130
	v_add_co_ci_u32_e32 v11, vcc_lo, v11, v131, vcc_lo
	v_sub_nc_u32_e32 v2, v2, v115
	s_delay_alu instid0(VALU_DEP_1) | instskip(SKIP_2) | instid1(VALU_DEP_1)
	v_cmp_gt_i32_e64 s13, 1, v2
	s_waitcnt vmcnt(0) lgkmcnt(0)
	v_add_nc_u16 v14, v15, v14
	v_bfe_i32 v15, v14, 0, 8
	v_sub_nc_u16 v16, 0, v14
	s_delay_alu instid0(VALU_DEP_2) | instskip(SKIP_2) | instid1(VALU_DEP_2)
	v_cmp_gt_i16_e32 vcc_lo, 0, v15
	s_and_b32 vcc_lo, s19, vcc_lo
	s_or_b32 s17, s13, s17
	v_cndmask_b32_e32 v14, v14, v16, vcc_lo
	s_delay_alu instid0(VALU_DEP_1) | instskip(NEXT) | instid1(VALU_DEP_1)
	v_and_b32_e32 v14, 0xff, v14
	v_mul_hi_u32 v15, v14, s18
	s_delay_alu instid0(VALU_DEP_1) | instskip(NEXT) | instid1(VALU_DEP_1)
	v_mul_lo_u32 v16, s30, v15
	v_sub_nc_u32_e32 v14, v14, v16
	s_delay_alu instid0(VALU_DEP_1) | instskip(NEXT) | instid1(VALU_DEP_1)
	v_cmp_le_u32_e64 s14, s30, v14
	v_add_co_ci_u32_e64 v14, s14, 0, v15, s14
	s_delay_alu instid0(VALU_DEP_1) | instskip(NEXT) | instid1(VALU_DEP_1)
	v_sub_nc_u32_e32 v15, 0, v14
	v_cndmask_b32_e32 v14, v14, v15, vcc_lo
	flat_store_b8 v[12:13], v14 glc slc dlc
	v_add_co_u32 v12, vcc_lo, v12, v130
	v_add_co_ci_u32_e32 v13, vcc_lo, v13, v131, vcc_lo
	s_and_not1_b32 exec_lo, exec_lo, s17
	s_cbranch_execnz .LBB6_716
.LBB6_717:                              ;   in Loop: Header=BB6_558 Depth=2
	s_set_inst_prefetch_distance 0x2
	s_or_b32 exec_lo, exec_lo, s16
.LBB6_718:                              ;   in Loop: Header=BB6_558 Depth=2
	s_delay_alu instid0(SALU_CYCLE_1)
	s_or_b32 exec_lo, exec_lo, s15
.LBB6_719:                              ;   in Loop: Header=BB6_558 Depth=2
	s_and_saveexec_b32 s13, s3
	s_cbranch_execz .LBB6_741
; %bb.720:                              ;   in Loop: Header=BB6_558 Depth=2
	s_and_saveexec_b32 s14, s4
	s_delay_alu instid0(SALU_CYCLE_1)
	s_xor_b32 s14, exec_lo, s14
	s_cbranch_execz .LBB6_738
; %bb.721:                              ;   in Loop: Header=BB6_558 Depth=2
	s_and_saveexec_b32 s15, s1
	s_cbranch_execz .LBB6_737
; %bb.722:                              ;   in Loop: Header=BB6_558 Depth=2
	s_mov_b32 s17, exec_lo
	s_mov_b32 s16, exec_lo
	v_mbcnt_lo_u32_b32 v2, s17, 0
	s_waitcnt lgkmcnt(0)
	s_waitcnt_vscnt null, 0x0
	buffer_gl1_inv
	buffer_gl0_inv
	v_cmpx_eq_u32_e32 0, v2
	s_cbranch_execz .LBB6_724
; %bb.723:                              ;   in Loop: Header=BB6_558 Depth=2
	s_bcnt1_i32_b32 s17, s17
	s_delay_alu instid0(SALU_CYCLE_1)
	v_mov_b32_e32 v2, s17
	ds_add_u64 v0, v[2:3]
	s_cbranch_execnz .LBB6_1746
.LBB6_724:                              ;   in Loop: Header=BB6_558 Depth=2
	s_or_b32 exec_lo, exec_lo, s16
	s_cbranch_execnz .LBB6_1720
; %bb.725:                              ;   in Loop: Header=BB6_558 Depth=2
	ds_load_b64 v[8:9], v0
	v_add_co_u32 v48, vcc_lo, v48, v97
	v_add_co_ci_u32_e32 v49, vcc_lo, 0, v49, vcc_lo
	s_mov_b32 s16, exec_lo
	s_waitcnt lgkmcnt(0)
	s_delay_alu instid0(VALU_DEP_1)
	v_cmpx_lt_u64_e64 v[8:9], v[48:49]
	s_cbranch_execz .LBB6_736
; %bb.726:                              ;   in Loop: Header=BB6_558 Depth=2
	s_mov_b32 s17, 0
	s_mov_b32 s20, 0
                                        ; implicit-def: $sgpr18
                                        ; implicit-def: $sgpr19
	s_branch .LBB6_728
.LBB6_727:                              ;   in Loop: Header=BB6_728 Depth=3
	s_or_b32 exec_lo, exec_lo, s23
	s_delay_alu instid0(SALU_CYCLE_1) | instskip(NEXT) | instid1(SALU_CYCLE_1)
	s_and_b32 s21, exec_lo, s22
	s_or_b32 s17, s21, s17
	s_and_not1_b32 s18, s18, exec_lo
	s_and_b32 s21, s19, exec_lo
	s_delay_alu instid0(SALU_CYCLE_1)
	s_or_b32 s18, s18, s21
	s_and_not1_b32 exec_lo, exec_lo, s17
	s_cbranch_execz .LBB6_734
.LBB6_728:                              ;   Parent Loop BB6_51 Depth=1
                                        ;     Parent Loop BB6_558 Depth=2
                                        ; =>    This Inner Loop Header: Depth=3
	s_add_i32 s20, s20, 1
                                        ; implicit-def: $sgpr22
	s_delay_alu instid0(SALU_CYCLE_1) | instskip(SKIP_1) | instid1(SALU_CYCLE_1)
	s_cmpk_lg_i32 s20, 0x2710
	s_cselect_b32 s21, -1, 0
	s_and_b32 vcc_lo, exec_lo, s21
	s_cbranch_vccz .LBB6_732
.LBB6_729:                              ;   in Loop: Header=BB6_728 Depth=3
	s_and_not1_b32 s19, s19, exec_lo
	s_and_b32 s23, s22, exec_lo
	s_mov_b32 s22, -1
	s_or_b32 s19, s19, s23
	s_and_saveexec_b32 s23, s21
	s_cbranch_execz .LBB6_727
; %bb.730:                              ;   in Loop: Header=BB6_728 Depth=3
	s_sleep 1
	s_cbranch_execnz .LBB6_1800
; %bb.731:                              ;   in Loop: Header=BB6_728 Depth=3
	ds_load_b64 v[8:9], v0
	s_and_not1_b32 s19, s19, exec_lo
	s_waitcnt lgkmcnt(0)
	v_cmp_ge_u64_e32 vcc_lo, v[8:9], v[48:49]
	s_or_not1_b32 s22, vcc_lo, exec_lo
	s_branch .LBB6_727
.LBB6_732:                              ;   in Loop: Header=BB6_728 Depth=3
	s_cbranch_execnz .LBB6_1818
; %bb.733:                              ;   in Loop: Header=BB6_728 Depth=3
	ds_load_b64 v[8:9], v0
	s_and_not1_b32 s21, s21, exec_lo
	s_mov_b32 s20, 0
	s_mov_b32 s22, -1
	s_waitcnt lgkmcnt(0)
	flat_load_b32 v2, v[8:9] glc
	s_waitcnt vmcnt(0) lgkmcnt(0)
	buffer_gl1_inv
	buffer_gl0_inv
	v_cmp_eq_u32_e32 vcc_lo, 0, v2
	s_and_b32 s23, vcc_lo, exec_lo
	s_delay_alu instid0(SALU_CYCLE_1)
	s_or_b32 s21, s21, s23
	s_branch .LBB6_729
.LBB6_734:                              ;   in Loop: Header=BB6_558 Depth=2
	s_or_b32 exec_lo, exec_lo, s17
	s_and_saveexec_b32 s17, s18
	s_delay_alu instid0(SALU_CYCLE_1)
	s_xor_b32 s17, exec_lo, s17
	s_cbranch_execz .LBB6_736
; %bb.735:                              ;   in Loop: Header=BB6_558 Depth=2
	ds_store_b32 v0, v144
	s_cbranch_execnz .LBB6_1922
.LBB6_736:                              ;   in Loop: Header=BB6_558 Depth=2
	s_or_b32 exec_lo, exec_lo, s16
	;;#ASMSTART
	s_wakeup
	;;#ASMEND
.LBB6_737:                              ;   in Loop: Header=BB6_558 Depth=2
	s_or_b32 exec_lo, exec_lo, s15
.LBB6_738:                              ;   in Loop: Header=BB6_558 Depth=2
	s_and_not1_saveexec_b32 s14, s14
	s_cbranch_execz .LBB6_740
; %bb.739:                              ;   in Loop: Header=BB6_558 Depth=2
	s_waitcnt lgkmcnt(0)
	s_waitcnt_vscnt null, 0x0
	buffer_gl1_inv
	buffer_gl0_inv
	s_barrier
.LBB6_740:                              ;   in Loop: Header=BB6_558 Depth=2
	s_or_b32 exec_lo, exec_lo, s14
.LBB6_741:                              ;   in Loop: Header=BB6_558 Depth=2
	s_delay_alu instid0(SALU_CYCLE_1) | instskip(SKIP_1) | instid1(SALU_CYCLE_1)
	s_or_b32 exec_lo, exec_lo, s13
                                        ; implicit-def: $vgpr2
	s_and_saveexec_b32 s13, s7
	s_xor_b32 s14, exec_lo, s13
	s_cbranch_execz .LBB6_745
; %bb.742:                              ;   in Loop: Header=BB6_558 Depth=2
	v_and_b32_e32 v2, 16, v30
	v_cmp_lt_i32_e32 vcc_lo, 0, v151
	s_delay_alu instid0(VALU_DEP_2) | instskip(SKIP_1) | instid1(VALU_DEP_2)
	v_cmp_ne_u32_e64 s13, 0, v2
	v_and_b32_e32 v2, 16, v30
	s_and_b32 s15, s13, vcc_lo
	s_delay_alu instid0(SALU_CYCLE_1)
	s_and_saveexec_b32 s13, s15
	s_cbranch_execz .LBB6_744
; %bb.743:                              ;   in Loop: Header=BB6_558 Depth=2
	v_mov_b32_e32 v2, 1
	s_waitcnt lgkmcnt(0)
	s_waitcnt_vscnt null, 0x0
	buffer_gl1_inv
	buffer_gl0_inv
.LBB6_744:                              ;   in Loop: Header=BB6_558 Depth=2
	s_or_b32 exec_lo, exec_lo, s13
.LBB6_745:                              ;   in Loop: Header=BB6_558 Depth=2
	s_and_not1_saveexec_b32 s13, s14
	s_cbranch_execz .LBB6_767
; %bb.746:                              ;   in Loop: Header=BB6_558 Depth=2
	s_and_saveexec_b32 s14, s4
	s_delay_alu instid0(SALU_CYCLE_1)
	s_xor_b32 s14, exec_lo, s14
	s_cbranch_execz .LBB6_764
; %bb.747:                              ;   in Loop: Header=BB6_558 Depth=2
	s_and_saveexec_b32 s15, s1
	s_cbranch_execz .LBB6_763
; %bb.748:                              ;   in Loop: Header=BB6_558 Depth=2
	s_mov_b32 s17, exec_lo
	s_mov_b32 s16, exec_lo
	v_mbcnt_lo_u32_b32 v2, s17, 0
	;;#ASMSTART
	s_waitcnt lgkmcnt(0) vmcnt(0)
	;;#ASMEND
	s_delay_alu instid0(VALU_DEP_1)
	v_cmpx_eq_u32_e32 0, v2
	s_cbranch_execz .LBB6_750
; %bb.749:                              ;   in Loop: Header=BB6_558 Depth=2
	s_bcnt1_i32_b32 s17, s17
	s_delay_alu instid0(SALU_CYCLE_1)
	v_mov_b32_e32 v2, s17
	ds_add_u64 v0, v[2:3]
	s_cbranch_execnz .LBB6_1750
.LBB6_750:                              ;   in Loop: Header=BB6_558 Depth=2
	s_or_b32 exec_lo, exec_lo, s16
	s_cbranch_execnz .LBB6_1724
; %bb.751:                              ;   in Loop: Header=BB6_558 Depth=2
	ds_load_b64 v[8:9], v0
	v_add_co_u32 v48, vcc_lo, v48, v97
	v_add_co_ci_u32_e32 v49, vcc_lo, 0, v49, vcc_lo
	s_mov_b32 s16, exec_lo
	s_waitcnt lgkmcnt(0)
	s_delay_alu instid0(VALU_DEP_1)
	v_cmpx_lt_u64_e64 v[8:9], v[48:49]
	s_cbranch_execz .LBB6_762
; %bb.752:                              ;   in Loop: Header=BB6_558 Depth=2
	s_mov_b32 s17, 0
	s_mov_b32 s20, 0
                                        ; implicit-def: $sgpr18
                                        ; implicit-def: $sgpr19
	s_branch .LBB6_754
.LBB6_753:                              ;   in Loop: Header=BB6_754 Depth=3
	s_or_b32 exec_lo, exec_lo, s23
	s_delay_alu instid0(SALU_CYCLE_1) | instskip(NEXT) | instid1(SALU_CYCLE_1)
	s_and_b32 s21, exec_lo, s22
	s_or_b32 s17, s21, s17
	s_and_not1_b32 s18, s18, exec_lo
	s_and_b32 s21, s19, exec_lo
	s_delay_alu instid0(SALU_CYCLE_1)
	s_or_b32 s18, s18, s21
	s_and_not1_b32 exec_lo, exec_lo, s17
	s_cbranch_execz .LBB6_760
.LBB6_754:                              ;   Parent Loop BB6_51 Depth=1
                                        ;     Parent Loop BB6_558 Depth=2
                                        ; =>    This Inner Loop Header: Depth=3
	s_add_i32 s20, s20, 1
                                        ; implicit-def: $sgpr22
	s_delay_alu instid0(SALU_CYCLE_1) | instskip(SKIP_1) | instid1(SALU_CYCLE_1)
	s_cmpk_lg_i32 s20, 0x2710
	s_cselect_b32 s21, -1, 0
	s_and_b32 vcc_lo, exec_lo, s21
	s_cbranch_vccz .LBB6_758
.LBB6_755:                              ;   in Loop: Header=BB6_754 Depth=3
	s_and_not1_b32 s19, s19, exec_lo
	s_and_b32 s23, s22, exec_lo
	s_mov_b32 s22, -1
	s_or_b32 s19, s19, s23
	s_and_saveexec_b32 s23, s21
	s_cbranch_execz .LBB6_753
; %bb.756:                              ;   in Loop: Header=BB6_754 Depth=3
	s_sleep 1
	s_cbranch_execnz .LBB6_1806
; %bb.757:                              ;   in Loop: Header=BB6_754 Depth=3
	ds_load_b64 v[8:9], v0
	s_and_not1_b32 s19, s19, exec_lo
	s_waitcnt lgkmcnt(0)
	v_cmp_ge_u64_e32 vcc_lo, v[8:9], v[48:49]
	s_or_not1_b32 s22, vcc_lo, exec_lo
	s_branch .LBB6_753
.LBB6_758:                              ;   in Loop: Header=BB6_754 Depth=3
	s_cbranch_execnz .LBB6_1824
; %bb.759:                              ;   in Loop: Header=BB6_754 Depth=3
	ds_load_b64 v[8:9], v0
	s_and_not1_b32 s21, s21, exec_lo
	s_mov_b32 s20, 0
	s_mov_b32 s22, -1
	s_waitcnt lgkmcnt(0)
	s_waitcnt_vscnt null, 0x0
	flat_load_b32 v2, v[8:9] glc
	s_waitcnt vmcnt(0) lgkmcnt(0)
	buffer_gl1_inv
	buffer_gl0_inv
	v_cmp_eq_u32_e32 vcc_lo, 0, v2
	s_and_b32 s23, vcc_lo, exec_lo
	s_delay_alu instid0(SALU_CYCLE_1)
	s_or_b32 s21, s21, s23
	s_branch .LBB6_755
.LBB6_760:                              ;   in Loop: Header=BB6_558 Depth=2
	s_or_b32 exec_lo, exec_lo, s17
	s_and_saveexec_b32 s17, s18
	s_delay_alu instid0(SALU_CYCLE_1)
	s_xor_b32 s17, exec_lo, s17
	s_cbranch_execz .LBB6_762
; %bb.761:                              ;   in Loop: Header=BB6_558 Depth=2
	ds_store_b32 v0, v144
	s_cbranch_execnz .LBB6_1924
.LBB6_762:                              ;   in Loop: Header=BB6_558 Depth=2
	s_or_b32 exec_lo, exec_lo, s16
	;;#ASMSTART
	s_wakeup
	;;#ASMEND
.LBB6_763:                              ;   in Loop: Header=BB6_558 Depth=2
	s_or_b32 exec_lo, exec_lo, s15
.LBB6_764:                              ;   in Loop: Header=BB6_558 Depth=2
	s_and_not1_saveexec_b32 s14, s14
	s_cbranch_execz .LBB6_766
; %bb.765:                              ;   in Loop: Header=BB6_558 Depth=2
	;;#ASMSTART
	s_waitcnt lgkmcnt(0) vmcnt(0)
	;;#ASMEND
	s_waitcnt lgkmcnt(0)
	s_waitcnt_vscnt null, 0x0
	s_barrier
.LBB6_766:                              ;   in Loop: Header=BB6_558 Depth=2
	s_or_b32 exec_lo, exec_lo, s14
	v_and_b32_e32 v2, 16, v30
.LBB6_767:                              ;   in Loop: Header=BB6_558 Depth=2
	s_or_b32 exec_lo, exec_lo, s13
	s_delay_alu instid0(VALU_DEP_1) | instskip(SKIP_1) | instid1(SALU_CYCLE_1)
	v_cmp_ne_u32_e32 vcc_lo, 0, v2
	s_xor_b32 s13, s10, -1
	s_and_b32 s14, vcc_lo, s13
	s_delay_alu instid0(SALU_CYCLE_1)
	s_and_saveexec_b32 s13, s14
	s_cbranch_execz .LBB6_769
; %bb.768:                              ;   in Loop: Header=BB6_558 Depth=2
	s_waitcnt lgkmcnt(0)
	s_waitcnt_vscnt null, 0x0
	flat_store_b32 v[38:39], v144
.LBB6_769:                              ;   in Loop: Header=BB6_558 Depth=2
	s_or_b32 exec_lo, exec_lo, s13
	v_and_b32_e32 v2, 48, v30
	s_mov_b32 s13, exec_lo
	s_delay_alu instid0(VALU_DEP_1)
	v_cmpx_ne_u32_e32 0, v2
	s_cbranch_execz .LBB6_771
; %bb.770:                              ;   in Loop: Header=BB6_558 Depth=2
	v_add_co_u32 v34, vcc_lo, v34, 2
	v_add_co_ci_u32_e32 v35, vcc_lo, 0, v35, vcc_lo
	s_waitcnt lgkmcnt(0)
	s_waitcnt_vscnt null, 0x0
	flat_store_b64 v[32:33], v[34:35]
.LBB6_771:                              ;   in Loop: Header=BB6_558 Depth=2
	s_or_b32 exec_lo, exec_lo, s13
	v_add_nc_u32_e32 v148, v68, v148
	v_readlane_b32 s13, v173, 1
	v_readlane_b32 s16, v173, 3
	;; [unrolled: 1-line block ×4, first 2 shown]
	v_cmp_ge_i32_e32 vcc_lo, v148, v147
	s_xor_b32 s13, s13, -1
	v_readlane_b32 s39, v173, 6
	v_readlane_b32 s21, v173, 8
	;; [unrolled: 1-line block ×3, first 2 shown]
	s_or_b32 s13, s13, vcc_lo
	v_readlane_b32 s24, v173, 9
	s_and_b32 s14, exec_lo, s13
	v_readlane_b32 s13, v173, 2
	v_readlane_b32 s41, v173, 10
	v_readlane_b32 s42, v173, 11
	v_readlane_b32 s43, v173, 12
	v_readlane_b32 s28, v173, 13
	v_mov_b32_e32 v2, s13
	v_readlane_b32 s29, v173, 14
	v_readlane_b32 s44, v173, 15
	;; [unrolled: 1-line block ×8, first 2 shown]
	s_or_b32 s16, s14, s16
	s_mov_b32 s15, 0
	s_mov_b32 s17, 2
	s_and_not1_b32 exec_lo, exec_lo, s16
	s_cbranch_execnz .LBB6_558
; %bb.772:                              ;   in Loop: Header=BB6_51 Depth=1
	s_or_b32 exec_lo, exec_lo, s16
	v_readlane_b32 s13, v173, 0
.LBB6_773:                              ;   in Loop: Header=BB6_51 Depth=1
	s_delay_alu instid0(VALU_DEP_1) | instskip(NEXT) | instid1(SALU_CYCLE_1)
	s_or_b32 exec_lo, exec_lo, s13
	s_mov_b32 s14, exec_lo
	v_cmpx_gt_i32_e32 2, v2
	s_cbranch_execz .LBB6_859
; %bb.774:                              ;   in Loop: Header=BB6_51 Depth=1
	v_cmp_eq_u32_e64 s13, 0, v2
	s_mov_b32 s15, 0
.LBB6_775:                              ;   Parent Loop BB6_51 Depth=1
                                        ; =>  This Loop Header: Depth=2
                                        ;       Child Loop BB6_781 Depth 3
                                        ;       Child Loop BB6_813 Depth 3
                                        ;       Child Loop BB6_840 Depth 3
	v_and_b32_e32 v2, 12, v30
	s_mov_b32 s17, -1
	s_mov_b32 s16, exec_lo
	s_delay_alu instid0(VALU_DEP_1)
	v_cmpx_ne_u32_e32 0, v2
	s_cbranch_execz .LBB6_789
; %bb.776:                              ;   in Loop: Header=BB6_775 Depth=2
	v_and_b32_e32 v2, 8, v30
	s_delay_alu instid0(VALU_DEP_1) | instskip(SKIP_3) | instid1(VALU_DEP_1)
	v_add_co_u32 v10, vcc_lo, v50, v2
	v_add_co_ci_u32_e32 v11, vcc_lo, 0, v51, vcc_lo
	v_add_co_u32 v8, vcc_lo, v34, 2
	v_add_co_ci_u32_e32 v9, vcc_lo, 0, v35, vcc_lo
	v_cmp_lt_u64_e32 vcc_lo, v[10:11], v[8:9]
	v_mov_b32_e32 v10, 1
	s_and_saveexec_b32 s17, vcc_lo
	s_cbranch_execz .LBB6_788
; %bb.777:                              ;   in Loop: Header=BB6_775 Depth=2
	v_mov_b32_e32 v10, 0
	s_mov_b32 s18, 0
                                        ; implicit-def: $sgpr19
	s_branch .LBB6_781
.LBB6_778:                              ;   in Loop: Header=BB6_781 Depth=3
	s_or_b32 exec_lo, exec_lo, s26
	v_mov_b32_e32 v11, 0
	s_or_not1_b32 s25, s25, exec_lo
.LBB6_779:                              ;   in Loop: Header=BB6_781 Depth=3
	s_or_b32 exec_lo, exec_lo, s22
	s_delay_alu instid0(VALU_DEP_1) | instskip(SKIP_2) | instid1(SALU_CYCLE_1)
	v_mov_b32_e32 v10, v11
	s_and_not1_b32 s19, s19, exec_lo
	s_and_b32 s22, s25, exec_lo
	s_or_b32 s19, s19, s22
.LBB6_780:                              ;   in Loop: Header=BB6_781 Depth=3
	s_or_b32 exec_lo, exec_lo, s20
	s_waitcnt vmcnt(0) lgkmcnt(0)
	v_add_co_u32 v11, vcc_lo, v50, v2
	v_add_co_ci_u32_e32 v12, vcc_lo, 0, v51, vcc_lo
	s_xor_b32 s20, s19, -1
	s_delay_alu instid0(VALU_DEP_1) | instskip(SKIP_1) | instid1(SALU_CYCLE_1)
	v_cmp_ge_u64_e32 vcc_lo, v[11:12], v[8:9]
	s_or_b32 s20, s20, vcc_lo
	s_and_b32 s20, exec_lo, s20
	s_delay_alu instid0(SALU_CYCLE_1) | instskip(NEXT) | instid1(SALU_CYCLE_1)
	s_or_b32 s18, s20, s18
	s_and_not1_b32 exec_lo, exec_lo, s18
	s_cbranch_execz .LBB6_787
.LBB6_781:                              ;   Parent Loop BB6_51 Depth=1
                                        ;     Parent Loop BB6_775 Depth=2
                                        ; =>    This Inner Loop Header: Depth=3
	s_sleep 1
	flat_load_b64 v[50:51], v[32:33] glc
	v_and_b32_e32 v11, 64, v30
	s_and_not1_b32 s19, s19, exec_lo
	s_mov_b32 s20, exec_lo
	s_delay_alu instid0(VALU_DEP_1)
	v_cmpx_eq_u32_e32 0, v11
	s_cbranch_execz .LBB6_780
; %bb.782:                              ;   in Loop: Header=BB6_781 Depth=3
	v_add_nc_u32_e32 v11, 1, v10
	s_mov_b32 s25, -1
	s_mov_b32 s22, exec_lo
	v_cmpx_lt_i32_e32 0x270e, v10
	s_cbranch_execz .LBB6_779
; %bb.783:                              ;   in Loop: Header=BB6_781 Depth=3
	s_cbranch_execnz .LBB6_1520
; %bb.784:                              ;   in Loop: Header=BB6_781 Depth=3
	ds_load_b64 v[10:11], v0
	s_mov_b32 s26, exec_lo
	s_waitcnt vmcnt(0) lgkmcnt(0)
	s_waitcnt_vscnt null, 0x0
	flat_load_b32 v10, v[10:11] glc
	s_waitcnt vmcnt(0) lgkmcnt(0)
	buffer_gl1_inv
	buffer_gl0_inv
	v_cmpx_ne_u32_e32 0, v10
	s_cbranch_execz .LBB6_778
; %bb.785:                              ;   in Loop: Header=BB6_781 Depth=3
	ds_store_b32 v0, v10
	s_cbranch_execnz .LBB6_1574
; %bb.786:                              ;   in Loop: Header=BB6_781 Depth=3
	v_or_b32_e32 v30, 64, v30
	s_xor_b32 s25, exec_lo, -1
	s_branch .LBB6_778
.LBB6_787:                              ;   in Loop: Header=BB6_775 Depth=2
	s_or_b32 exec_lo, exec_lo, s18
	v_and_b32_e32 v10, 12, v30
.LBB6_788:                              ;   in Loop: Header=BB6_775 Depth=2
	s_or_b32 exec_lo, exec_lo, s17
	s_delay_alu instid0(VALU_DEP_1)
	v_cmp_eq_u32_e32 vcc_lo, 0, v10
	;;#ASMSTART
	s_wakeup
	;;#ASMEND
	s_or_not1_b32 s17, vcc_lo, exec_lo
.LBB6_789:                              ;   in Loop: Header=BB6_775 Depth=2
	s_or_b32 exec_lo, exec_lo, s16
	v_sub_nc_u32_e32 v2, v147, v148
	s_xor_b32 s13, s13, -1
	s_delay_alu instid0(SALU_CYCLE_1) | instskip(NEXT) | instid1(SALU_CYCLE_1)
	s_and_b32 s13, exec_lo, s13
	s_or_b32 s15, s13, s15
	s_delay_alu instid0(VALU_DEP_1) | instskip(SKIP_1) | instid1(SALU_CYCLE_1)
	v_min_i32_e32 v68, v68, v2
	s_xor_b32 s13, s17, -1
	s_and_saveexec_b32 s16, s13
	s_cbranch_execz .LBB6_804
; %bb.790:                              ;   in Loop: Header=BB6_775 Depth=2
	v_and_b32_e32 v2, 0x108, v30
	s_mov_b32 s13, exec_lo
	s_delay_alu instid0(VALU_DEP_1)
	v_cmpx_ne_u32_e32 0x108, v2
	s_xor_b32 s13, exec_lo, s13
                                        ; implicit-def: $vgpr8_vgpr9
; %bb.791:                              ;   in Loop: Header=BB6_775 Depth=2
	v_and_b32_e32 v8, 7, v34
; %bb.792:                              ;   in Loop: Header=BB6_775 Depth=2
	s_and_not1_saveexec_b32 s13, s13
	s_cbranch_execz .LBB6_794
; %bb.793:                              ;   in Loop: Header=BB6_775 Depth=2
	v_and_b32_e32 v8, 7, v34
	v_ashrrev_i32_e32 v69, 31, v68
	s_delay_alu instid0(VALU_DEP_2)
	v_mad_u64_u32 v[9:10], null, v8, 24, v[6:7]
	flat_store_b64 v[9:10], v[68:69] offset:8
.LBB6_794:                              ;   in Loop: Header=BB6_775 Depth=2
	s_or_b32 exec_lo, exec_lo, s13
	v_and_b32_e32 v2, 0x100, v30
	s_mov_b32 s13, -1
	s_mov_b32 s17, exec_lo
                                        ; implicit-def: $vgpr9_vgpr10
	s_delay_alu instid0(VALU_DEP_1)
	v_cmpx_ne_u32_e32 0, v2
	s_cbranch_execnz .LBB6_797
; %bb.795:                              ;   in Loop: Header=BB6_775 Depth=2
	s_or_b32 exec_lo, exec_lo, s17
	s_and_saveexec_b32 s17, s13
	s_cbranch_execnz .LBB6_800
.LBB6_796:                              ;   in Loop: Header=BB6_775 Depth=2
	s_or_b32 exec_lo, exec_lo, s17
	s_cbranch_execnz .LBB6_1516
	s_branch .LBB6_801
.LBB6_797:                              ;   in Loop: Header=BB6_775 Depth=2
	v_mad_u64_u32 v[11:12], null, v8, 24, v[6:7]
	s_mov_b32 s18, exec_lo
	s_delay_alu instid0(VALU_DEP_1) | instskip(NEXT) | instid1(VALU_DEP_1)
	v_mov_b32_e32 v2, v12
	v_mad_u64_u32 v[9:10], null, v3, 24, v[2:3]
	s_delay_alu instid0(VALU_DEP_1)
	v_mov_b32_e32 v12, v9
                                        ; implicit-def: $vgpr9_vgpr10
	flat_load_b32 v2, v[11:12]
	s_waitcnt vmcnt(0) lgkmcnt(0)
	v_cmp_ne_u32_e32 vcc_lo, 1, v2
	v_cmpx_eq_u32_e32 1, v2
	s_cbranch_execz .LBB6_799
; %bb.798:                              ;   in Loop: Header=BB6_775 Depth=2
	flat_load_b32 v9, v[11:12] offset:4 glc
	s_waitcnt vmcnt(0) lgkmcnt(0)
	v_ashrrev_i32_e32 v10, 31, v9
.LBB6_799:                              ;   in Loop: Header=BB6_775 Depth=2
	s_or_b32 exec_lo, exec_lo, s18
	s_delay_alu instid0(SALU_CYCLE_1)
	s_or_not1_b32 s13, vcc_lo, exec_lo
	s_or_b32 exec_lo, exec_lo, s17
	s_and_saveexec_b32 s17, s13
	s_cbranch_execz .LBB6_796
.LBB6_800:                              ;   in Loop: Header=BB6_775 Depth=2
	v_mul_lo_u32 v2, v3, v86
	v_mul_lo_u32 v11, v8, v96
	v_mad_u64_u32 v[9:10], null, v8, v86, 0
	s_delay_alu instid0(VALU_DEP_1)
	v_add3_u32 v10, v10, v11, v2
	s_or_b32 exec_lo, exec_lo, s17
	s_cbranch_execnz .LBB6_1516
.LBB6_801:                              ;   in Loop: Header=BB6_775 Depth=2
	s_delay_alu instid0(VALU_DEP_2)
	v_add_co_u32 v8, vcc_lo, v36, v9
	v_and_b32_e32 v2, 0x2000, v30
	v_add_co_ci_u32_e32 v9, vcc_lo, v37, v10, vcc_lo
	s_mov_b32 s13, exec_lo
	ds_store_b64 v0, v[8:9]
	v_cmpx_ne_u32_e32 0, v2
	s_cbranch_execz .LBB6_803
; %bb.802:                              ;   in Loop: Header=BB6_775 Depth=2
	ds_load_b64 v[8:9], v0 offset:584
	s_waitcnt lgkmcnt(0)
	v_add_co_u32 v8, vcc_lo, v8, 1
	v_add_co_ci_u32_e32 v9, vcc_lo, 0, v9, vcc_lo
	ds_store_b64 v0, v[8:9] offset:584
.LBB6_803:                              ;   in Loop: Header=BB6_775 Depth=2
	s_or_b32 exec_lo, exec_lo, s13
	v_add_co_u32 v34, vcc_lo, v34, 2
	v_add_co_ci_u32_e32 v35, vcc_lo, 0, v35, vcc_lo
.LBB6_804:                              ;   in Loop: Header=BB6_775 Depth=2
	s_or_b32 exec_lo, exec_lo, s16
	s_and_saveexec_b32 s13, s3
	s_cbranch_execz .LBB6_826
; %bb.805:                              ;   in Loop: Header=BB6_775 Depth=2
	s_and_saveexec_b32 s16, s4
	s_delay_alu instid0(SALU_CYCLE_1)
	s_xor_b32 s16, exec_lo, s16
	s_cbranch_execz .LBB6_823
; %bb.806:                              ;   in Loop: Header=BB6_775 Depth=2
	s_and_saveexec_b32 s17, s1
	s_cbranch_execz .LBB6_822
; %bb.807:                              ;   in Loop: Header=BB6_775 Depth=2
	s_mov_b32 s19, exec_lo
	s_mov_b32 s18, exec_lo
	v_mbcnt_lo_u32_b32 v2, s19, 0
	s_waitcnt lgkmcnt(0)
	s_waitcnt_vscnt null, 0x0
	buffer_gl1_inv
	buffer_gl0_inv
	v_cmpx_eq_u32_e32 0, v2
	s_cbranch_execz .LBB6_809
; %bb.808:                              ;   in Loop: Header=BB6_775 Depth=2
	s_bcnt1_i32_b32 s19, s19
	s_delay_alu instid0(SALU_CYCLE_1)
	v_mov_b32_e32 v2, s19
	ds_add_u64 v0, v[2:3]
	s_cbranch_execnz .LBB6_1630
.LBB6_809:                              ;   in Loop: Header=BB6_775 Depth=2
	s_or_b32 exec_lo, exec_lo, s18
	s_cbranch_execnz .LBB6_1604
; %bb.810:                              ;   in Loop: Header=BB6_775 Depth=2
	ds_load_b64 v[8:9], v0
	v_add_co_u32 v48, vcc_lo, v48, v97
	v_add_co_ci_u32_e32 v49, vcc_lo, 0, v49, vcc_lo
	s_mov_b32 s18, exec_lo
	s_waitcnt lgkmcnt(0)
	s_delay_alu instid0(VALU_DEP_1)
	v_cmpx_lt_u64_e64 v[8:9], v[48:49]
	s_cbranch_execz .LBB6_821
; %bb.811:                              ;   in Loop: Header=BB6_775 Depth=2
	s_mov_b32 s19, 0
	s_mov_b32 s25, 0
                                        ; implicit-def: $sgpr20
                                        ; implicit-def: $sgpr22
	s_branch .LBB6_813
.LBB6_812:                              ;   in Loop: Header=BB6_813 Depth=3
	s_or_b32 exec_lo, exec_lo, vcc_hi
	s_delay_alu instid0(SALU_CYCLE_1) | instskip(NEXT) | instid1(SALU_CYCLE_1)
	s_and_b32 s26, exec_lo, s27
	s_or_b32 s19, s26, s19
	s_and_not1_b32 s20, s20, exec_lo
	s_and_b32 s26, s22, exec_lo
	s_delay_alu instid0(SALU_CYCLE_1)
	s_or_b32 s20, s20, s26
	s_and_not1_b32 exec_lo, exec_lo, s19
	s_cbranch_execz .LBB6_819
.LBB6_813:                              ;   Parent Loop BB6_51 Depth=1
                                        ;     Parent Loop BB6_775 Depth=2
                                        ; =>    This Inner Loop Header: Depth=3
	s_add_i32 s25, s25, 1
                                        ; implicit-def: $sgpr27
	s_delay_alu instid0(SALU_CYCLE_1) | instskip(SKIP_1) | instid1(SALU_CYCLE_1)
	s_cmpk_lg_i32 s25, 0x2710
	s_cselect_b32 s26, -1, 0
	s_and_b32 vcc_lo, exec_lo, s26
	s_cbranch_vccz .LBB6_817
.LBB6_814:                              ;   in Loop: Header=BB6_813 Depth=3
	s_and_not1_b32 s22, s22, exec_lo
	s_and_b32 vcc_lo, s27, exec_lo
	s_mov_b32 s27, -1
	s_or_b32 s22, s22, vcc_lo
	s_and_saveexec_b32 vcc_hi, s26
	s_cbranch_execz .LBB6_812
; %bb.815:                              ;   in Loop: Header=BB6_813 Depth=3
	s_sleep 1
	s_cbranch_execnz .LBB6_1678
; %bb.816:                              ;   in Loop: Header=BB6_813 Depth=3
	ds_load_b64 v[8:9], v0
	s_and_not1_b32 s22, s22, exec_lo
	s_waitcnt lgkmcnt(0)
	v_cmp_ge_u64_e32 vcc_lo, v[8:9], v[48:49]
	s_or_not1_b32 s27, vcc_lo, exec_lo
	s_branch .LBB6_812
.LBB6_817:                              ;   in Loop: Header=BB6_813 Depth=3
	s_cbranch_execnz .LBB6_1694
; %bb.818:                              ;   in Loop: Header=BB6_813 Depth=3
	ds_load_b64 v[8:9], v0
	s_and_not1_b32 s26, s26, exec_lo
	s_mov_b32 s25, 0
	s_mov_b32 s27, -1
	s_waitcnt lgkmcnt(0)
	flat_load_b32 v2, v[8:9] glc
	s_waitcnt vmcnt(0) lgkmcnt(0)
	buffer_gl1_inv
	buffer_gl0_inv
	v_cmp_eq_u32_e32 vcc_lo, 0, v2
	s_and_b32 vcc_lo, vcc_lo, exec_lo
	s_delay_alu instid0(SALU_CYCLE_1)
	s_or_b32 s26, s26, vcc_lo
	s_branch .LBB6_814
.LBB6_819:                              ;   in Loop: Header=BB6_775 Depth=2
	s_or_b32 exec_lo, exec_lo, s19
	s_and_saveexec_b32 s19, s20
	s_delay_alu instid0(SALU_CYCLE_1)
	s_xor_b32 s19, exec_lo, s19
	s_cbranch_execz .LBB6_821
; %bb.820:                              ;   in Loop: Header=BB6_775 Depth=2
	ds_store_b32 v0, v144
	s_cbranch_execnz .LBB6_1884
.LBB6_821:                              ;   in Loop: Header=BB6_775 Depth=2
	s_or_b32 exec_lo, exec_lo, s18
	;;#ASMSTART
	s_wakeup
	;;#ASMEND
.LBB6_822:                              ;   in Loop: Header=BB6_775 Depth=2
	s_or_b32 exec_lo, exec_lo, s17
.LBB6_823:                              ;   in Loop: Header=BB6_775 Depth=2
	s_and_not1_saveexec_b32 s16, s16
	s_cbranch_execz .LBB6_825
; %bb.824:                              ;   in Loop: Header=BB6_775 Depth=2
	s_waitcnt lgkmcnt(0)
	s_waitcnt_vscnt null, 0x0
	buffer_gl1_inv
	buffer_gl0_inv
	s_barrier
.LBB6_825:                              ;   in Loop: Header=BB6_775 Depth=2
	s_or_b32 exec_lo, exec_lo, s16
.LBB6_826:                              ;   in Loop: Header=BB6_775 Depth=2
	s_delay_alu instid0(SALU_CYCLE_1) | instskip(SKIP_1) | instid1(SALU_CYCLE_1)
	s_or_b32 exec_lo, exec_lo, s13
                                        ; implicit-def: $vgpr2
	s_and_saveexec_b32 s13, s7
	s_xor_b32 s16, exec_lo, s13
	s_cbranch_execz .LBB6_831
; %bb.827:                              ;   in Loop: Header=BB6_775 Depth=2
	s_cbranch_execnz .LBB6_1530
; %bb.828:                              ;   in Loop: Header=BB6_775 Depth=2
	ds_load_b32 v2, v0
	v_cmp_lt_i32_e32 vcc_lo, 0, v68
	s_waitcnt lgkmcnt(0)
	v_readfirstlane_b32 s13, v2
	v_and_b32_e32 v2, 16, v30
	s_delay_alu instid0(VALU_DEP_2) | instskip(NEXT) | instid1(VALU_DEP_1)
	s_cmp_eq_u32 s13, 0
	v_cmp_ne_u32_e64 s13, 0, v2
	s_cselect_b32 s17, -1, 0
	v_and_b32_e32 v2, 16, v30
	s_and_b32 s17, vcc_lo, s17
	s_delay_alu instid0(VALU_DEP_2) | instid1(SALU_CYCLE_1)
	s_and_b32 s17, s13, s17
	s_delay_alu instid0(SALU_CYCLE_1)
	s_and_saveexec_b32 s13, s17
	s_cbranch_execz .LBB6_830
; %bb.829:                              ;   in Loop: Header=BB6_775 Depth=2
	v_mov_b32_e32 v2, 1
	s_waitcnt_vscnt null, 0x0
	buffer_gl1_inv
	buffer_gl0_inv
.LBB6_830:                              ;   in Loop: Header=BB6_775 Depth=2
	s_or_b32 exec_lo, exec_lo, s13
.LBB6_831:                              ;   in Loop: Header=BB6_775 Depth=2
	s_and_not1_saveexec_b32 s13, s16
	s_cbranch_execz .LBB6_853
; %bb.832:                              ;   in Loop: Header=BB6_775 Depth=2
	s_and_saveexec_b32 s16, s4
	s_delay_alu instid0(SALU_CYCLE_1)
	s_xor_b32 s16, exec_lo, s16
	s_cbranch_execz .LBB6_850
; %bb.833:                              ;   in Loop: Header=BB6_775 Depth=2
	s_and_saveexec_b32 s17, s1
	s_cbranch_execz .LBB6_849
; %bb.834:                              ;   in Loop: Header=BB6_775 Depth=2
	s_mov_b32 s19, exec_lo
	s_mov_b32 s18, exec_lo
	v_mbcnt_lo_u32_b32 v2, s19, 0
	;;#ASMSTART
	s_waitcnt lgkmcnt(0) vmcnt(0)
	;;#ASMEND
	s_delay_alu instid0(VALU_DEP_1)
	v_cmpx_eq_u32_e32 0, v2
	s_cbranch_execz .LBB6_836
; %bb.835:                              ;   in Loop: Header=BB6_775 Depth=2
	s_bcnt1_i32_b32 s19, s19
	s_delay_alu instid0(SALU_CYCLE_1)
	v_mov_b32_e32 v2, s19
	ds_add_u64 v0, v[2:3]
	s_cbranch_execnz .LBB6_1640
.LBB6_836:                              ;   in Loop: Header=BB6_775 Depth=2
	s_or_b32 exec_lo, exec_lo, s18
	s_cbranch_execnz .LBB6_1628
; %bb.837:                              ;   in Loop: Header=BB6_775 Depth=2
	ds_load_b64 v[8:9], v0
	v_add_co_u32 v48, vcc_lo, v48, v97
	v_add_co_ci_u32_e32 v49, vcc_lo, 0, v49, vcc_lo
	s_mov_b32 s18, exec_lo
	s_waitcnt lgkmcnt(0)
	s_delay_alu instid0(VALU_DEP_1)
	v_cmpx_lt_u64_e64 v[8:9], v[48:49]
	s_cbranch_execz .LBB6_848
; %bb.838:                              ;   in Loop: Header=BB6_775 Depth=2
	s_mov_b32 s19, 0
	s_mov_b32 s25, 0
                                        ; implicit-def: $sgpr20
                                        ; implicit-def: $sgpr22
	s_branch .LBB6_840
.LBB6_839:                              ;   in Loop: Header=BB6_840 Depth=3
	s_or_b32 exec_lo, exec_lo, vcc_hi
	s_delay_alu instid0(SALU_CYCLE_1) | instskip(NEXT) | instid1(SALU_CYCLE_1)
	s_and_b32 s26, exec_lo, s27
	s_or_b32 s19, s26, s19
	s_and_not1_b32 s20, s20, exec_lo
	s_and_b32 s26, s22, exec_lo
	s_delay_alu instid0(SALU_CYCLE_1)
	s_or_b32 s20, s20, s26
	s_and_not1_b32 exec_lo, exec_lo, s19
	s_cbranch_execz .LBB6_846
.LBB6_840:                              ;   Parent Loop BB6_51 Depth=1
                                        ;     Parent Loop BB6_775 Depth=2
                                        ; =>    This Inner Loop Header: Depth=3
	s_add_i32 s25, s25, 1
                                        ; implicit-def: $sgpr27
	s_delay_alu instid0(SALU_CYCLE_1) | instskip(SKIP_1) | instid1(SALU_CYCLE_1)
	s_cmpk_lg_i32 s25, 0x2710
	s_cselect_b32 s26, -1, 0
	s_and_b32 vcc_lo, exec_lo, s26
	s_cbranch_vccz .LBB6_844
.LBB6_841:                              ;   in Loop: Header=BB6_840 Depth=3
	s_and_not1_b32 s22, s22, exec_lo
	s_and_b32 vcc_lo, s27, exec_lo
	s_mov_b32 s27, -1
	s_or_b32 s22, s22, vcc_lo
	s_and_saveexec_b32 vcc_hi, s26
	s_cbranch_execz .LBB6_839
; %bb.842:                              ;   in Loop: Header=BB6_840 Depth=3
	s_sleep 1
	s_cbranch_execnz .LBB6_1702
; %bb.843:                              ;   in Loop: Header=BB6_840 Depth=3
	ds_load_b64 v[8:9], v0
	s_and_not1_b32 s22, s22, exec_lo
	s_waitcnt lgkmcnt(0)
	v_cmp_ge_u64_e32 vcc_lo, v[8:9], v[48:49]
	s_or_not1_b32 s27, vcc_lo, exec_lo
	s_branch .LBB6_839
.LBB6_844:                              ;   in Loop: Header=BB6_840 Depth=3
	s_cbranch_execnz .LBB6_1714
; %bb.845:                              ;   in Loop: Header=BB6_840 Depth=3
	ds_load_b64 v[8:9], v0
	s_and_not1_b32 s26, s26, exec_lo
	s_mov_b32 s25, 0
	s_mov_b32 s27, -1
	s_waitcnt lgkmcnt(0)
	s_waitcnt_vscnt null, 0x0
	flat_load_b32 v2, v[8:9] glc
	s_waitcnt vmcnt(0) lgkmcnt(0)
	buffer_gl1_inv
	buffer_gl0_inv
	v_cmp_eq_u32_e32 vcc_lo, 0, v2
	s_and_b32 vcc_lo, vcc_lo, exec_lo
	s_delay_alu instid0(SALU_CYCLE_1)
	s_or_b32 s26, s26, vcc_lo
	s_branch .LBB6_841
.LBB6_846:                              ;   in Loop: Header=BB6_775 Depth=2
	s_or_b32 exec_lo, exec_lo, s19
	s_and_saveexec_b32 s19, s20
	s_delay_alu instid0(SALU_CYCLE_1)
	s_xor_b32 s19, exec_lo, s19
	s_cbranch_execz .LBB6_848
; %bb.847:                              ;   in Loop: Header=BB6_775 Depth=2
	ds_store_b32 v0, v144
	s_cbranch_execnz .LBB6_1896
.LBB6_848:                              ;   in Loop: Header=BB6_775 Depth=2
	s_or_b32 exec_lo, exec_lo, s18
	;;#ASMSTART
	s_wakeup
	;;#ASMEND
.LBB6_849:                              ;   in Loop: Header=BB6_775 Depth=2
	s_or_b32 exec_lo, exec_lo, s17
.LBB6_850:                              ;   in Loop: Header=BB6_775 Depth=2
	s_and_not1_saveexec_b32 s16, s16
	s_cbranch_execz .LBB6_852
; %bb.851:                              ;   in Loop: Header=BB6_775 Depth=2
	;;#ASMSTART
	s_waitcnt lgkmcnt(0) vmcnt(0)
	;;#ASMEND
	s_waitcnt lgkmcnt(0)
	s_waitcnt_vscnt null, 0x0
	s_barrier
.LBB6_852:                              ;   in Loop: Header=BB6_775 Depth=2
	s_or_b32 exec_lo, exec_lo, s16
	v_and_b32_e32 v2, 16, v30
.LBB6_853:                              ;   in Loop: Header=BB6_775 Depth=2
	s_or_b32 exec_lo, exec_lo, s13
	s_delay_alu instid0(VALU_DEP_1) | instskip(SKIP_1) | instid1(SALU_CYCLE_1)
	v_cmp_ne_u32_e32 vcc_lo, 0, v2
	s_xor_b32 s13, s10, -1
	s_and_b32 s16, vcc_lo, s13
	s_delay_alu instid0(SALU_CYCLE_1)
	s_and_saveexec_b32 s13, s16
	s_cbranch_execz .LBB6_855
; %bb.854:                              ;   in Loop: Header=BB6_775 Depth=2
	s_waitcnt lgkmcnt(0)
	s_waitcnt_vscnt null, 0x0
	flat_store_b32 v[38:39], v144
.LBB6_855:                              ;   in Loop: Header=BB6_775 Depth=2
	s_or_b32 exec_lo, exec_lo, s13
	v_and_b32_e32 v2, 48, v30
	s_mov_b32 s13, exec_lo
	s_delay_alu instid0(VALU_DEP_1)
	v_cmpx_ne_u32_e32 0, v2
	s_cbranch_execz .LBB6_857
; %bb.856:                              ;   in Loop: Header=BB6_775 Depth=2
	v_add_co_u32 v34, vcc_lo, v34, 2
	v_add_co_ci_u32_e32 v35, vcc_lo, 0, v35, vcc_lo
	s_waitcnt lgkmcnt(0)
	s_waitcnt_vscnt null, 0x0
	flat_store_b64 v[32:33], v[34:35]
.LBB6_857:                              ;   in Loop: Header=BB6_775 Depth=2
	s_or_b32 exec_lo, exec_lo, s13
	v_add_nc_u32_e32 v148, v68, v148
	s_mov_b32 s13, 0
	s_and_not1_b32 exec_lo, exec_lo, s15
	s_cbranch_execnz .LBB6_775
; %bb.858:                              ;   in Loop: Header=BB6_51 Depth=1
	s_or_b32 exec_lo, exec_lo, s15
.LBB6_859:                              ;   in Loop: Header=BB6_51 Depth=1
	s_delay_alu instid0(SALU_CYCLE_1)
	s_or_b32 exec_lo, exec_lo, s14
	s_mov_b32 s20, s38
	s_mov_b32 s27, s37
	;; [unrolled: 1-line block ×3, first 2 shown]
	s_mov_b32 vcc_hi, s35
	s_mov_b32 s26, s34
	s_mov_b32 s34, s31
	;; [unrolled: 1-line block ×12, first 2 shown]
	s_and_not1_b32 vcc_lo, exec_lo, s44
	s_cbranch_vccnz .LBB6_1154
; %bb.860:                              ;   in Loop: Header=BB6_51 Depth=1
	s_mov_b32 s37, 1
.LBB6_861:                              ;   Parent Loop BB6_51 Depth=1
                                        ; =>  This Loop Header: Depth=2
                                        ;       Child Loop BB6_863 Depth 3
                                        ;         Child Loop BB6_872 Depth 4
                                        ;         Child Loop BB6_902 Depth 4
	;; [unrolled: 1-line block ×5, first 2 shown]
                                        ;           Child Loop BB6_957 Depth 5
                                        ;         Child Loop BB6_968 Depth 4
                                        ;         Child Loop BB6_974 Depth 4
                                        ;           Child Loop BB6_975 Depth 5
                                        ;         Child Loop BB6_989 Depth 4
                                        ;         Child Loop BB6_995 Depth 4
	;; [unrolled: 1-line block ×6, first 2 shown]
                                        ;       Child Loop BB6_1070 Depth 3
                                        ;         Child Loop BB6_1076 Depth 4
                                        ;         Child Loop BB6_1106 Depth 4
                                        ;         Child Loop BB6_1133 Depth 4
	s_delay_alu instid0(SALU_CYCLE_1) | instskip(SKIP_4) | instid1(SALU_CYCLE_1)
	s_sub_i32 s13, s31, s37
	v_mov_b32_e32 v16, 0
	s_cmp_le_i32 s23, s13
	s_mov_b32 s39, 0
	s_cselect_b32 s14, s23, 0
	s_sub_i32 s13, s13, s14
	s_delay_alu instid0(SALU_CYCLE_1) | instskip(SKIP_3) | instid1(VALU_DEP_1)
	s_ashr_i32 s14, s13, 31
	v_mul_lo_u32 v2, v65, s13
	v_mad_u64_u32 v[8:9], null, v64, s13, 0
	v_mul_lo_u32 v10, v64, s14
	v_add3_u32 v9, v9, v10, v2
	s_delay_alu instid0(VALU_DEP_3) | instskip(NEXT) | instid1(VALU_DEP_2)
	v_sub_co_u32 v10, vcc_lo, v66, v8
	v_sub_co_ci_u32_e32 v11, vcc_lo, v67, v9, vcc_lo
	s_delay_alu instid0(VALU_DEP_1) | instskip(SKIP_1) | instid1(VALU_DEP_1)
	v_cmp_lt_i64_e32 vcc_lo, v[64:65], v[10:11]
	v_cndmask_b32_e32 v10, v10, v64, vcc_lo
	v_max_i32_e32 v15, 0, v10
	s_delay_alu instid0(VALU_DEP_1) | instskip(NEXT) | instid1(VALU_DEP_1)
	v_add_nc_u32_e32 v2, 31, v15
	v_lshrrev_b32_e32 v2, 1, v2
	s_delay_alu instid0(VALU_DEP_1) | instskip(SKIP_2) | instid1(VALU_DEP_3)
	v_and_b32_e32 v11, 0x3ffffff0, v2
	v_cmp_lt_i32_e32 vcc_lo, 0, v10
	v_mov_b32_e32 v2, 0
	v_max_i32_e32 v12, s25, v11
	s_and_b32 s13, s27, vcc_lo
	s_delay_alu instid0(SALU_CYCLE_1)
	s_and_saveexec_b32 s38, s13
	s_cbranch_execz .LBB6_1068
; %bb.862:                              ;   in Loop: Header=BB6_861 Depth=2
	v_add_co_u32 v17, vcc_lo, v8, v145
	v_add_co_ci_u32_e32 v18, vcc_lo, v9, v146, vcc_lo
	v_mov_b32_e32 v16, 0
	s_mov_b32 s41, 1
	s_mov_b32 s40, -1
.LBB6_863:                              ;   Parent Loop BB6_51 Depth=1
                                        ;     Parent Loop BB6_861 Depth=2
                                        ; =>    This Loop Header: Depth=3
                                        ;         Child Loop BB6_872 Depth 4
                                        ;         Child Loop BB6_902 Depth 4
	;; [unrolled: 1-line block ×5, first 2 shown]
                                        ;           Child Loop BB6_957 Depth 5
                                        ;         Child Loop BB6_968 Depth 4
                                        ;         Child Loop BB6_974 Depth 4
                                        ;           Child Loop BB6_975 Depth 5
                                        ;         Child Loop BB6_989 Depth 4
                                        ;         Child Loop BB6_995 Depth 4
	;; [unrolled: 1-line block ×6, first 2 shown]
	s_and_saveexec_b32 s14, s0
	s_cbranch_execz .LBB6_866
; %bb.864:                              ;   in Loop: Header=BB6_863 Depth=3
	s_cbranch_execnz .LBB6_1556
; %bb.865:                              ;   in Loop: Header=BB6_863 Depth=3
	ds_load_b128 v[8:11], v0
	v_ashrrev_i32_e32 v2, 31, v16
	s_waitcnt lgkmcnt(0)
	v_add_co_u32 v13, vcc_lo, v10, v17
	v_add_co_ci_u32_e32 v14, vcc_lo, v11, v18, vcc_lo
	v_add_co_u32 v8, vcc_lo, v8, v17
	v_add_co_ci_u32_e32 v9, vcc_lo, v9, v18, vcc_lo
	s_delay_alu instid0(VALU_DEP_4) | instskip(NEXT) | instid1(VALU_DEP_4)
	v_add_co_u32 v13, vcc_lo, v13, v16
	v_add_co_ci_u32_e32 v14, vcc_lo, v14, v2, vcc_lo
	v_cmp_ne_u64_e32 vcc_lo, 0, v[10:11]
	v_add_co_u32 v8, s13, v8, v16
	s_delay_alu instid0(VALU_DEP_1) | instskip(NEXT) | instid1(VALU_DEP_4)
	v_add_co_ci_u32_e64 v9, s13, v9, v2, s13
	v_dual_cndmask_b32 v11, 0, v14 :: v_dual_cndmask_b32 v10, 0, v13
	ds_store_b64 v0, v[8:9]
	ds_store_b64 v0, v[10:11]
.LBB6_866:                              ;   in Loop: Header=BB6_863 Depth=3
	s_or_b32 exec_lo, exec_lo, s14
	v_and_b32_e32 v2, 12, v30
	s_mov_b32 s14, -1
	s_mov_b32 s13, exec_lo
	s_delay_alu instid0(VALU_DEP_1)
	v_cmpx_ne_u32_e32 0, v2
	s_cbranch_execz .LBB6_880
; %bb.867:                              ;   in Loop: Header=BB6_863 Depth=3
	v_and_b32_e32 v2, 8, v30
	s_delay_alu instid0(VALU_DEP_1) | instskip(SKIP_3) | instid1(VALU_DEP_1)
	v_add_co_u32 v10, vcc_lo, v50, v2
	v_add_co_ci_u32_e32 v11, vcc_lo, 0, v51, vcc_lo
	v_add_co_u32 v8, vcc_lo, v34, 2
	v_add_co_ci_u32_e32 v9, vcc_lo, 0, v35, vcc_lo
	v_cmp_lt_u64_e32 vcc_lo, v[10:11], v[8:9]
	v_mov_b32_e32 v10, 1
	s_and_saveexec_b32 s14, vcc_lo
	s_cbranch_execz .LBB6_879
; %bb.868:                              ;   in Loop: Header=BB6_863 Depth=3
	v_mov_b32_e32 v10, 0
	s_mov_b32 s15, 0
                                        ; implicit-def: $sgpr16
	s_branch .LBB6_872
.LBB6_869:                              ;   in Loop: Header=BB6_872 Depth=4
	s_or_b32 exec_lo, exec_lo, s44
	v_mov_b32_e32 v11, 0
	s_or_not1_b32 s43, s43, exec_lo
.LBB6_870:                              ;   in Loop: Header=BB6_872 Depth=4
	s_or_b32 exec_lo, exec_lo, s42
	s_delay_alu instid0(VALU_DEP_1) | instskip(SKIP_2) | instid1(SALU_CYCLE_1)
	v_mov_b32_e32 v10, v11
	s_and_not1_b32 s16, s16, exec_lo
	s_and_b32 vcc_lo, s43, exec_lo
	s_or_b32 s16, s16, vcc_lo
.LBB6_871:                              ;   in Loop: Header=BB6_872 Depth=4
	s_or_b32 exec_lo, exec_lo, s17
	s_waitcnt vmcnt(0) lgkmcnt(0)
	v_add_co_u32 v13, vcc_lo, v50, v2
	v_add_co_ci_u32_e32 v14, vcc_lo, 0, v51, vcc_lo
	s_xor_b32 s17, s16, -1
	s_delay_alu instid0(VALU_DEP_1) | instskip(SKIP_1) | instid1(SALU_CYCLE_1)
	v_cmp_ge_u64_e32 vcc_lo, v[13:14], v[8:9]
	s_or_b32 s17, s17, vcc_lo
	s_and_b32 s17, exec_lo, s17
	s_delay_alu instid0(SALU_CYCLE_1) | instskip(NEXT) | instid1(SALU_CYCLE_1)
	s_or_b32 s15, s17, s15
	s_and_not1_b32 exec_lo, exec_lo, s15
	s_cbranch_execz .LBB6_878
.LBB6_872:                              ;   Parent Loop BB6_51 Depth=1
                                        ;     Parent Loop BB6_861 Depth=2
                                        ;       Parent Loop BB6_863 Depth=3
                                        ; =>      This Inner Loop Header: Depth=4
	s_sleep 1
	flat_load_b64 v[50:51], v[32:33] glc
	v_and_b32_e32 v11, 64, v30
	s_and_not1_b32 s16, s16, exec_lo
	s_mov_b32 s17, exec_lo
	s_delay_alu instid0(VALU_DEP_1)
	v_cmpx_eq_u32_e32 0, v11
	s_cbranch_execz .LBB6_871
; %bb.873:                              ;   in Loop: Header=BB6_872 Depth=4
	v_add_nc_u32_e32 v11, 1, v10
	s_mov_b32 s43, -1
	s_mov_b32 s42, exec_lo
	v_cmpx_lt_i32_e32 0x270e, v10
	s_cbranch_execz .LBB6_870
; %bb.874:                              ;   in Loop: Header=BB6_872 Depth=4
	s_cbranch_execnz .LBB6_1594
; %bb.875:                              ;   in Loop: Header=BB6_872 Depth=4
	ds_load_b64 v[10:11], v0
	s_mov_b32 s44, exec_lo
	s_waitcnt vmcnt(0) lgkmcnt(0)
	s_waitcnt_vscnt null, 0x0
	flat_load_b32 v10, v[10:11] glc
	s_waitcnt vmcnt(0) lgkmcnt(0)
	buffer_gl1_inv
	buffer_gl0_inv
	v_cmpx_ne_u32_e32 0, v10
	s_cbranch_execz .LBB6_869
; %bb.876:                              ;   in Loop: Header=BB6_872 Depth=4
	ds_store_b32 v0, v10
	s_cbranch_execnz .LBB6_1676
; %bb.877:                              ;   in Loop: Header=BB6_872 Depth=4
	v_or_b32_e32 v30, 64, v30
	s_xor_b32 s43, exec_lo, -1
	s_branch .LBB6_869
.LBB6_878:                              ;   in Loop: Header=BB6_863 Depth=3
	s_or_b32 exec_lo, exec_lo, s15
	v_and_b32_e32 v10, 12, v30
.LBB6_879:                              ;   in Loop: Header=BB6_863 Depth=3
	s_or_b32 exec_lo, exec_lo, s14
	s_delay_alu instid0(VALU_DEP_1)
	v_cmp_eq_u32_e32 vcc_lo, 0, v10
	;;#ASMSTART
	s_wakeup
	;;#ASMEND
	s_or_not1_b32 s14, vcc_lo, exec_lo
.LBB6_880:                              ;   in Loop: Header=BB6_863 Depth=3
	s_or_b32 exec_lo, exec_lo, s13
	v_sub_nc_u32_e32 v2, v15, v16
	s_xor_b32 s13, s14, -1
	s_delay_alu instid0(VALU_DEP_1)
	v_min_i32_e32 v12, v12, v2
	s_and_saveexec_b32 s14, s13
	s_cbranch_execz .LBB6_893
; %bb.881:                              ;   in Loop: Header=BB6_863 Depth=3
	v_and_b32_e32 v2, 0x108, v30
	s_delay_alu instid0(VALU_DEP_1) | instskip(SKIP_2) | instid1(SALU_CYCLE_1)
	v_cmp_ne_u32_e32 vcc_lo, 0x108, v2
	v_and_b32_e32 v2, 7, v34
	s_and_saveexec_b32 s13, vcc_lo
	s_xor_b32 s13, exec_lo, s13
	s_delay_alu instid0(SALU_CYCLE_1)
	s_and_not1_saveexec_b32 s13, s13
	s_cbranch_execz .LBB6_883
; %bb.882:                              ;   in Loop: Header=BB6_863 Depth=3
	v_mad_u64_u32 v[8:9], null, v2, 24, v[6:7]
	v_ashrrev_i32_e32 v13, 31, v12
	flat_store_b64 v[8:9], v[12:13] offset:8
.LBB6_883:                              ;   in Loop: Header=BB6_863 Depth=3
	s_or_b32 exec_lo, exec_lo, s13
	v_and_b32_e32 v8, 0x100, v30
	s_mov_b32 s13, -1
	s_delay_alu instid0(VALU_DEP_1)
	v_cmp_ne_u32_e32 vcc_lo, 0, v8
                                        ; implicit-def: $vgpr8_vgpr9
	s_and_saveexec_b32 s15, vcc_lo
	s_cbranch_execnz .LBB6_886
; %bb.884:                              ;   in Loop: Header=BB6_863 Depth=3
	s_or_b32 exec_lo, exec_lo, s15
	s_and_saveexec_b32 s15, s13
	s_cbranch_execnz .LBB6_889
.LBB6_885:                              ;   in Loop: Header=BB6_863 Depth=3
	s_or_b32 exec_lo, exec_lo, s15
	s_cbranch_execnz .LBB6_1584
	s_branch .LBB6_890
.LBB6_886:                              ;   in Loop: Header=BB6_863 Depth=3
	v_mad_u64_u32 v[10:11], null, v2, 24, v[6:7]
	s_delay_alu instid0(VALU_DEP_1) | instskip(NEXT) | instid1(VALU_DEP_1)
	v_mov_b32_e32 v8, v11
	v_mad_u64_u32 v[13:14], null, v3, 24, v[8:9]
	s_delay_alu instid0(VALU_DEP_1) | instskip(SKIP_4) | instid1(VALU_DEP_1)
	v_mov_b32_e32 v11, v13
	flat_load_b32 v8, v[10:11]
	s_waitcnt vmcnt(0) lgkmcnt(0)
	v_cmp_ne_u32_e32 vcc_lo, 1, v8
	v_cmp_eq_u32_e64 s13, 1, v8
                                        ; implicit-def: $vgpr8_vgpr9
	s_and_saveexec_b32 s16, s13
	s_cbranch_execz .LBB6_888
; %bb.887:                              ;   in Loop: Header=BB6_863 Depth=3
	flat_load_b32 v8, v[10:11] offset:4 glc
	s_waitcnt vmcnt(0) lgkmcnt(0)
	v_ashrrev_i32_e32 v9, 31, v8
.LBB6_888:                              ;   in Loop: Header=BB6_863 Depth=3
	s_or_b32 exec_lo, exec_lo, s16
	s_delay_alu instid0(SALU_CYCLE_1)
	s_or_not1_b32 s13, vcc_lo, exec_lo
	s_or_b32 exec_lo, exec_lo, s15
	s_and_saveexec_b32 s15, s13
	s_cbranch_execz .LBB6_885
.LBB6_889:                              ;   in Loop: Header=BB6_863 Depth=3
	v_mul_lo_u32 v10, v3, v86
	v_mul_lo_u32 v11, v2, v96
	v_mad_u64_u32 v[8:9], null, v2, v86, 0
	s_delay_alu instid0(VALU_DEP_1)
	v_add3_u32 v9, v9, v11, v10
	s_or_b32 exec_lo, exec_lo, s15
	s_cbranch_execnz .LBB6_1584
.LBB6_890:                              ;   in Loop: Header=BB6_863 Depth=3
	s_delay_alu instid0(VALU_DEP_2)
	v_add_co_u32 v8, vcc_lo, v36, v8
	v_and_b32_e32 v2, 0x2000, v30
	v_add_co_ci_u32_e32 v9, vcc_lo, v37, v9, vcc_lo
	s_mov_b32 s13, exec_lo
	ds_store_b64 v0, v[8:9]
	v_cmpx_ne_u32_e32 0, v2
	s_cbranch_execz .LBB6_892
; %bb.891:                              ;   in Loop: Header=BB6_863 Depth=3
	ds_load_b64 v[8:9], v0 offset:584
	s_waitcnt lgkmcnt(0)
	v_add_co_u32 v8, vcc_lo, v8, 1
	v_add_co_ci_u32_e32 v9, vcc_lo, 0, v9, vcc_lo
	ds_store_b64 v0, v[8:9] offset:584
.LBB6_892:                              ;   in Loop: Header=BB6_863 Depth=3
	s_or_b32 exec_lo, exec_lo, s13
	v_add_co_u32 v34, vcc_lo, v34, 2
	v_add_co_ci_u32_e32 v35, vcc_lo, 0, v35, vcc_lo
.LBB6_893:                              ;   in Loop: Header=BB6_863 Depth=3
	s_or_b32 exec_lo, exec_lo, s14
	s_and_saveexec_b32 s13, s3
	s_cbranch_execz .LBB6_915
; %bb.894:                              ;   in Loop: Header=BB6_863 Depth=3
	s_and_saveexec_b32 s14, s4
	s_delay_alu instid0(SALU_CYCLE_1)
	s_xor_b32 s14, exec_lo, s14
	s_cbranch_execz .LBB6_912
; %bb.895:                              ;   in Loop: Header=BB6_863 Depth=3
	s_and_saveexec_b32 s15, s1
	s_cbranch_execz .LBB6_911
; %bb.896:                              ;   in Loop: Header=BB6_863 Depth=3
	s_mov_b32 s17, exec_lo
	s_mov_b32 s16, exec_lo
	v_mbcnt_lo_u32_b32 v2, s17, 0
	s_waitcnt lgkmcnt(0)
	s_waitcnt_vscnt null, 0x0
	buffer_gl1_inv
	buffer_gl0_inv
	v_cmpx_eq_u32_e32 0, v2
	s_cbranch_execz .LBB6_898
; %bb.897:                              ;   in Loop: Header=BB6_863 Depth=3
	s_bcnt1_i32_b32 s17, s17
	s_delay_alu instid0(SALU_CYCLE_1)
	v_mov_b32_e32 v2, s17
	ds_add_u64 v0, v[2:3]
	s_cbranch_execnz .LBB6_1732
.LBB6_898:                              ;   in Loop: Header=BB6_863 Depth=3
	s_or_b32 exec_lo, exec_lo, s16
	s_cbranch_execnz .LBB6_1704
; %bb.899:                              ;   in Loop: Header=BB6_863 Depth=3
	ds_load_b64 v[8:9], v0
	v_add_co_u32 v48, vcc_lo, v48, v97
	v_add_co_ci_u32_e32 v49, vcc_lo, 0, v49, vcc_lo
	s_mov_b32 s16, exec_lo
	s_waitcnt lgkmcnt(0)
	s_delay_alu instid0(VALU_DEP_1)
	v_cmpx_lt_u64_e64 v[8:9], v[48:49]
	s_cbranch_execz .LBB6_910
; %bb.900:                              ;   in Loop: Header=BB6_863 Depth=3
	s_mov_b32 s17, 0
	s_mov_b32 s44, 0
                                        ; implicit-def: $sgpr42
                                        ; implicit-def: $sgpr43
	s_branch .LBB6_902
.LBB6_901:                              ;   in Loop: Header=BB6_902 Depth=4
	s_or_b32 exec_lo, exec_lo, s46
	s_delay_alu instid0(SALU_CYCLE_1) | instskip(NEXT) | instid1(SALU_CYCLE_1)
	s_and_b32 vcc_lo, exec_lo, vcc_lo
	s_or_b32 s17, vcc_lo, s17
	s_and_not1_b32 vcc_lo, s42, exec_lo
	s_and_b32 s42, s43, exec_lo
	s_delay_alu instid0(SALU_CYCLE_1)
	s_or_b32 s42, vcc_lo, s42
	s_and_not1_b32 exec_lo, exec_lo, s17
	s_cbranch_execz .LBB6_908
.LBB6_902:                              ;   Parent Loop BB6_51 Depth=1
                                        ;     Parent Loop BB6_861 Depth=2
                                        ;       Parent Loop BB6_863 Depth=3
                                        ; =>      This Inner Loop Header: Depth=4
	s_add_i32 s44, s44, 1
                                        ; implicit-def: $sgpr46
	s_delay_alu instid0(SALU_CYCLE_1) | instskip(SKIP_1) | instid1(SALU_CYCLE_1)
	s_cmpk_lg_i32 s44, 0x2710
	s_cselect_b32 s45, -1, 0
	s_and_b32 vcc_lo, exec_lo, s45
	s_cbranch_vccz .LBB6_906
.LBB6_903:                              ;   in Loop: Header=BB6_902 Depth=4
	s_and_not1_b32 s43, s43, exec_lo
	s_and_b32 s46, s46, exec_lo
	s_mov_b32 vcc_lo, -1
	s_or_b32 s43, s43, s46
	s_and_saveexec_b32 s46, s45
	s_cbranch_execz .LBB6_901
; %bb.904:                              ;   in Loop: Header=BB6_902 Depth=4
	s_sleep 1
	s_cbranch_execnz .LBB6_1784
; %bb.905:                              ;   in Loop: Header=BB6_902 Depth=4
	ds_load_b64 v[8:9], v0
	s_and_not1_b32 s43, s43, exec_lo
	s_waitcnt lgkmcnt(0)
	v_cmp_ge_u64_e32 vcc_lo, v[8:9], v[48:49]
	s_or_not1_b32 vcc_lo, vcc_lo, exec_lo
	s_branch .LBB6_901
.LBB6_906:                              ;   in Loop: Header=BB6_902 Depth=4
	s_cbranch_execnz .LBB6_1802
; %bb.907:                              ;   in Loop: Header=BB6_902 Depth=4
	ds_load_b64 v[8:9], v0
	s_and_not1_b32 s45, s45, exec_lo
	s_mov_b32 s44, 0
	s_mov_b32 s46, -1
	s_waitcnt lgkmcnt(0)
	flat_load_b32 v2, v[8:9] glc
	s_waitcnt vmcnt(0) lgkmcnt(0)
	buffer_gl1_inv
	buffer_gl0_inv
	v_cmp_eq_u32_e32 vcc_lo, 0, v2
	s_and_b32 vcc_lo, vcc_lo, exec_lo
	s_delay_alu instid0(SALU_CYCLE_1)
	s_or_b32 s45, s45, vcc_lo
	s_branch .LBB6_903
.LBB6_908:                              ;   in Loop: Header=BB6_863 Depth=3
	s_or_b32 exec_lo, exec_lo, s17
	s_and_saveexec_b32 s17, s42
	s_delay_alu instid0(SALU_CYCLE_1)
	s_xor_b32 s17, exec_lo, s17
	s_cbranch_execz .LBB6_910
; %bb.909:                              ;   in Loop: Header=BB6_863 Depth=3
	ds_store_b32 v0, v144
	s_cbranch_execnz .LBB6_1916
.LBB6_910:                              ;   in Loop: Header=BB6_863 Depth=3
	s_or_b32 exec_lo, exec_lo, s16
	;;#ASMSTART
	s_wakeup
	;;#ASMEND
.LBB6_911:                              ;   in Loop: Header=BB6_863 Depth=3
	s_or_b32 exec_lo, exec_lo, s15
.LBB6_912:                              ;   in Loop: Header=BB6_863 Depth=3
	s_and_not1_saveexec_b32 s14, s14
	s_cbranch_execz .LBB6_914
; %bb.913:                              ;   in Loop: Header=BB6_863 Depth=3
	s_waitcnt lgkmcnt(0)
	s_waitcnt_vscnt null, 0x0
	buffer_gl1_inv
	buffer_gl0_inv
	s_barrier
.LBB6_914:                              ;   in Loop: Header=BB6_863 Depth=3
	s_or_b32 exec_lo, exec_lo, s14
.LBB6_915:                              ;   in Loop: Header=BB6_863 Depth=3
	s_delay_alu instid0(SALU_CYCLE_1)
	s_or_b32 exec_lo, exec_lo, s13
	s_cbranch_execnz .LBB6_1568
; %bb.916:                              ;   in Loop: Header=BB6_863 Depth=3
	ds_load_b32 v8, v0
	v_and_b32_e32 v2, 0x4000, v30
	s_xor_b32 s13, s2, -1
	s_delay_alu instid0(VALU_DEP_1) | instskip(SKIP_1) | instid1(SALU_CYCLE_1)
	v_cmp_ne_u32_e32 vcc_lo, 0, v2
	s_and_b32 s14, s13, vcc_lo
	s_and_saveexec_b32 s13, s14
	s_cbranch_execz .LBB6_938
; %bb.917:                              ;   in Loop: Header=BB6_863 Depth=3
	s_and_saveexec_b32 s14, s4
	s_delay_alu instid0(SALU_CYCLE_1)
	s_xor_b32 s14, exec_lo, s14
	s_cbranch_execz .LBB6_935
; %bb.918:                              ;   in Loop: Header=BB6_863 Depth=3
	s_and_saveexec_b32 s15, s1
	s_cbranch_execz .LBB6_934
; %bb.919:                              ;   in Loop: Header=BB6_863 Depth=3
	s_mov_b32 s17, exec_lo
	s_mov_b32 s16, exec_lo
	v_mbcnt_lo_u32_b32 v2, s17, 0
	s_waitcnt lgkmcnt(0)
	s_waitcnt_vscnt null, 0x0
	buffer_gl1_inv
	buffer_gl0_inv
	v_cmpx_eq_u32_e32 0, v2
	s_cbranch_execz .LBB6_921
; %bb.920:                              ;   in Loop: Header=BB6_863 Depth=3
	s_bcnt1_i32_b32 s17, s17
	s_delay_alu instid0(SALU_CYCLE_1)
	v_mov_b32_e32 v2, s17
	ds_add_u64 v0, v[2:3]
	s_cbranch_execnz .LBB6_1774
.LBB6_921:                              ;   in Loop: Header=BB6_863 Depth=3
	s_or_b32 exec_lo, exec_lo, s16
	s_cbranch_execnz .LBB6_1754
; %bb.922:                              ;   in Loop: Header=BB6_863 Depth=3
	ds_load_b64 v[9:10], v0
	v_add_co_u32 v48, vcc_lo, v48, v97
	v_add_co_ci_u32_e32 v49, vcc_lo, 0, v49, vcc_lo
	s_mov_b32 s16, exec_lo
	s_waitcnt lgkmcnt(0)
	s_delay_alu instid0(VALU_DEP_1)
	v_cmpx_lt_u64_e64 v[9:10], v[48:49]
	s_cbranch_execz .LBB6_933
; %bb.923:                              ;   in Loop: Header=BB6_863 Depth=3
	s_mov_b32 s17, 0
	s_mov_b32 s44, 0
                                        ; implicit-def: $sgpr42
                                        ; implicit-def: $sgpr43
	s_branch .LBB6_925
.LBB6_924:                              ;   in Loop: Header=BB6_925 Depth=4
	s_or_b32 exec_lo, exec_lo, s46
	s_delay_alu instid0(SALU_CYCLE_1) | instskip(NEXT) | instid1(SALU_CYCLE_1)
	s_and_b32 vcc_lo, exec_lo, vcc_lo
	s_or_b32 s17, vcc_lo, s17
	s_and_not1_b32 vcc_lo, s42, exec_lo
	s_and_b32 s42, s43, exec_lo
	s_delay_alu instid0(SALU_CYCLE_1)
	s_or_b32 s42, vcc_lo, s42
	s_and_not1_b32 exec_lo, exec_lo, s17
	s_cbranch_execz .LBB6_931
.LBB6_925:                              ;   Parent Loop BB6_51 Depth=1
                                        ;     Parent Loop BB6_861 Depth=2
                                        ;       Parent Loop BB6_863 Depth=3
                                        ; =>      This Inner Loop Header: Depth=4
	s_add_i32 s44, s44, 1
                                        ; implicit-def: $sgpr46
	s_delay_alu instid0(SALU_CYCLE_1) | instskip(SKIP_1) | instid1(SALU_CYCLE_1)
	s_cmpk_lg_i32 s44, 0x2710
	s_cselect_b32 s45, -1, 0
	s_and_b32 vcc_lo, exec_lo, s45
	s_cbranch_vccz .LBB6_929
.LBB6_926:                              ;   in Loop: Header=BB6_925 Depth=4
	s_and_not1_b32 s43, s43, exec_lo
	s_and_b32 s46, s46, exec_lo
	s_mov_b32 vcc_lo, -1
	s_or_b32 s43, s43, s46
	s_and_saveexec_b32 s46, s45
	s_cbranch_execz .LBB6_924
; %bb.927:                              ;   in Loop: Header=BB6_925 Depth=4
	s_sleep 1
	s_cbranch_execnz .LBB6_1838
; %bb.928:                              ;   in Loop: Header=BB6_925 Depth=4
	ds_load_b64 v[9:10], v0
	s_and_not1_b32 s43, s43, exec_lo
	s_waitcnt lgkmcnt(0)
	v_cmp_ge_u64_e32 vcc_lo, v[9:10], v[48:49]
	s_or_not1_b32 vcc_lo, vcc_lo, exec_lo
	s_branch .LBB6_924
.LBB6_929:                              ;   in Loop: Header=BB6_925 Depth=4
	s_cbranch_execnz .LBB6_1846
; %bb.930:                              ;   in Loop: Header=BB6_925 Depth=4
	ds_load_b64 v[9:10], v0
	s_and_not1_b32 s45, s45, exec_lo
	s_mov_b32 s44, 0
	s_mov_b32 s46, -1
	s_waitcnt lgkmcnt(0)
	flat_load_b32 v2, v[9:10] glc
	s_waitcnt vmcnt(0) lgkmcnt(0)
	buffer_gl1_inv
	buffer_gl0_inv
	v_cmp_eq_u32_e32 vcc_lo, 0, v2
	s_and_b32 vcc_lo, vcc_lo, exec_lo
	s_delay_alu instid0(SALU_CYCLE_1)
	s_or_b32 s45, s45, vcc_lo
	s_branch .LBB6_926
.LBB6_931:                              ;   in Loop: Header=BB6_863 Depth=3
	s_or_b32 exec_lo, exec_lo, s17
	s_and_saveexec_b32 s17, s42
	s_delay_alu instid0(SALU_CYCLE_1)
	s_xor_b32 s17, exec_lo, s17
	s_cbranch_execz .LBB6_933
; %bb.932:                              ;   in Loop: Header=BB6_863 Depth=3
	ds_store_b32 v0, v144
	s_cbranch_execnz .LBB6_1930
.LBB6_933:                              ;   in Loop: Header=BB6_863 Depth=3
	s_or_b32 exec_lo, exec_lo, s16
	;;#ASMSTART
	s_wakeup
	;;#ASMEND
.LBB6_934:                              ;   in Loop: Header=BB6_863 Depth=3
	s_or_b32 exec_lo, exec_lo, s15
.LBB6_935:                              ;   in Loop: Header=BB6_863 Depth=3
	s_and_not1_saveexec_b32 s14, s14
	s_cbranch_execz .LBB6_937
; %bb.936:                              ;   in Loop: Header=BB6_863 Depth=3
	s_waitcnt lgkmcnt(0)
	s_waitcnt_vscnt null, 0x0
	buffer_gl1_inv
	buffer_gl0_inv
	s_barrier
.LBB6_937:                              ;   in Loop: Header=BB6_863 Depth=3
	s_or_b32 exec_lo, exec_lo, s14
.LBB6_938:                              ;   in Loop: Header=BB6_863 Depth=3
	s_delay_alu instid0(SALU_CYCLE_1)
	s_or_b32 exec_lo, exec_lo, s13
	s_cbranch_execnz .LBB6_1624
; %bb.939:                              ;   in Loop: Header=BB6_863 Depth=3
	ds_load_b64 v[9:10], v0
	v_mov_b32_e32 v19, 0
	s_waitcnt lgkmcnt(0)
	v_cmp_eq_u64_e32 vcc_lo, 0, v[9:10]
	s_or_b32 s13, vcc_lo, vcc_lo
	s_delay_alu instid0(SALU_CYCLE_1)
	s_and_b32 vcc_lo, exec_lo, s13
	s_cbranch_vccnz .LBB6_1014
; %bb.940:                              ;   in Loop: Header=BB6_863 Depth=3
	v_cmp_eq_u32_e32 vcc_lo, 0, v8
	s_cbranch_execnz .LBB6_1698
; %bb.941:                              ;   in Loop: Header=BB6_863 Depth=3
	ds_load_b64 v[8:9], v0
	v_cndmask_b32_e32 v19, 0, v12, vcc_lo
	s_waitcnt lgkmcnt(0)
	v_cmp_ne_u64_e64 s13, 0, v[8:9]
	s_delay_alu instid0(VALU_DEP_1)
	s_and_b32 vcc_lo, exec_lo, s13
	s_cbranch_vccz .LBB6_979
; %bb.942:                              ;   in Loop: Header=BB6_863 Depth=3
	s_mov_b32 s13, -1
	s_and_saveexec_b32 s14, s6
	s_cbranch_execz .LBB6_944
; %bb.943:                              ;   in Loop: Header=BB6_863 Depth=3
	ds_load_b32 v2, v0 offset:720
	s_waitcnt lgkmcnt(0)
	v_and_b32_e32 v2, 15, v2
	s_delay_alu instid0(VALU_DEP_1)
	v_cmp_eq_u32_e32 vcc_lo, 0, v2
	s_or_not1_b32 s13, vcc_lo, exec_lo
.LBB6_944:                              ;   in Loop: Header=BB6_863 Depth=3
	s_or_b32 exec_lo, exec_lo, s14
	s_and_saveexec_b32 s14, s12
	s_cbranch_execz .LBB6_946
; %bb.945:                              ;   in Loop: Header=BB6_863 Depth=3
	ds_load_b32 v2, v0 offset:784
	s_waitcnt lgkmcnt(0)
	v_and_b32_e32 v2, 15, v2
	s_delay_alu instid0(VALU_DEP_1) | instskip(SKIP_3) | instid1(SALU_CYCLE_1)
	v_cmp_eq_u32_e32 vcc_lo, 0, v2
	s_and_b32 s15, s13, vcc_lo
	s_and_not1_b32 s13, s13, exec_lo
	s_and_b32 s15, s15, exec_lo
	s_or_b32 s13, s13, s15
.LBB6_946:                              ;   in Loop: Header=BB6_863 Depth=3
	s_or_b32 exec_lo, exec_lo, s14
	s_xor_b32 s13, s13, -1
	v_mov_b32_e32 v20, v19
	v_cndmask_b32_e64 v2, 0, 1, s13
	;;#ASMSTART
	;;#ASMEND
	s_delay_alu instid0(VALU_DEP_1)
	v_cmp_ne_u32_e32 vcc_lo, 0, v2
	v_dual_mov_b32 v2, 0 :: v_dual_mov_b32 v21, v0
	v_mov_b32_e32 v8, v98
	s_mov_b32 s13, -1
	s_cbranch_vccnz .LBB6_964
; %bb.947:                              ;   in Loop: Header=BB6_863 Depth=3
	v_ashrrev_i32_e32 v2, 31, v19
	s_mov_b32 s14, exec_lo
	s_delay_alu instid0(VALU_DEP_1) | instskip(NEXT) | instid1(VALU_DEP_1)
	v_lshrrev_b32_e32 v2, 21, v2
	v_add_nc_u32_e32 v2, v19, v2
	s_delay_alu instid0(VALU_DEP_1) | instskip(NEXT) | instid1(VALU_DEP_1)
	v_ashrrev_i32_e32 v2, 11, v2
	v_sub_nc_u32_e32 v23, v2, v98
	s_delay_alu instid0(VALU_DEP_1)
	v_cmpx_lt_i32_e32 0, v23
	s_cbranch_execz .LBB6_952
; %bb.948:                              ;   in Loop: Header=BB6_863 Depth=3
	s_cbranch_execnz .LBB6_1860
; %bb.949:                              ;   in Loop: Header=BB6_863 Depth=3
	ds_load_b64 v[8:9], v0
	ds_load_b128 v[68:71], v0
	s_mov_b32 s15, 0
	s_waitcnt lgkmcnt(1)
	v_add_co_u32 v8, vcc_lo, v8, v132
	v_add_co_ci_u32_e32 v9, vcc_lo, v9, v133, vcc_lo
	s_waitcnt lgkmcnt(0)
	v_add_co_u32 v10, vcc_lo, v68, v132
	v_add_co_ci_u32_e32 v11, vcc_lo, v69, v133, vcc_lo
	v_add_co_u32 v13, vcc_lo, v70, v132
	v_add_co_ci_u32_e32 v14, vcc_lo, v71, v133, vcc_lo
	s_set_inst_prefetch_distance 0x1
.LBB6_950:                              ;   Parent Loop BB6_51 Depth=1
                                        ;     Parent Loop BB6_861 Depth=2
                                        ;       Parent Loop BB6_863 Depth=3
                                        ; =>      This Inner Loop Header: Depth=4
	s_clause 0x3
	global_load_b128 v[68:71], v[8:9], off slc dlc
	global_load_b128 v[80:83], v[8:9], off offset:512 slc dlc
	global_load_b128 v[147:150], v[8:9], off offset:1024 slc dlc
	;; [unrolled: 1-line block ×3, first 2 shown]
	v_sub_nc_u32_e32 v23, v23, v97
	v_add_co_u32 v8, vcc_lo, v8, v134
	v_add_co_ci_u32_e32 v9, vcc_lo, v9, v135, vcc_lo
	s_delay_alu instid0(VALU_DEP_3)
	v_cmp_gt_i32_e32 vcc_lo, 1, v23
	s_waitcnt vmcnt(3)
	global_store_b128 v[10:11], v[68:71], off glc slc dlc
	s_waitcnt vmcnt(2)
	global_store_b128 v[10:11], v[80:83], off offset:512 glc slc dlc
	s_waitcnt vmcnt(1)
	global_store_b128 v[10:11], v[147:150], off offset:1024 glc slc dlc
	;; [unrolled: 2-line block ×3, first 2 shown]
	s_clause 0x3
	global_store_b128 v[13:14], v[68:71], off glc slc dlc
	global_store_b128 v[13:14], v[80:83], off offset:512 glc slc dlc
	global_store_b128 v[13:14], v[147:150], off offset:1024 glc slc dlc
	;; [unrolled: 1-line block ×3, first 2 shown]
	v_add_co_u32 v10, s13, v10, v134
	s_delay_alu instid0(VALU_DEP_1) | instskip(SKIP_1) | instid1(VALU_DEP_1)
	v_add_co_ci_u32_e64 v11, s13, v11, v135, s13
	v_add_co_u32 v13, s13, v13, v134
	v_add_co_ci_u32_e64 v14, s13, v14, v135, s13
	s_or_b32 s15, vcc_lo, s15
	s_delay_alu instid0(SALU_CYCLE_1)
	s_and_not1_b32 exec_lo, exec_lo, s15
	s_cbranch_execnz .LBB6_950
; %bb.951:                              ;   in Loop: Header=BB6_863 Depth=3
	s_set_inst_prefetch_distance 0x2
	s_or_b32 exec_lo, exec_lo, s15
.LBB6_952:                              ;   in Loop: Header=BB6_863 Depth=3
	s_delay_alu instid0(SALU_CYCLE_1) | instskip(SKIP_4) | instid1(VALU_DEP_2)
	s_or_b32 exec_lo, exec_lo, s14
	v_lshlrev_b32_e32 v22, 11, v2
	v_mov_b32_e32 v2, 0
	s_mov_b32 s13, 0
	s_mov_b32 s16, exec_lo
                                        ; implicit-def: $vgpr20
                                        ; implicit-def: $vgpr21
                                        ; implicit-def: $vgpr8
	v_cmpx_ne_u32_e64 v19, v22
	s_cbranch_execz .LBB6_963
; %bb.953:                              ;   in Loop: Header=BB6_863 Depth=3
	v_lshlrev_b32_e32 v2, 5, v23
	v_sub_nc_u32_e32 v9, v19, v22
	s_mov_b32 s17, exec_lo
	s_delay_alu instid0(VALU_DEP_2) | instskip(NEXT) | instid1(VALU_DEP_2)
	v_sub_nc_u32_e32 v2, v99, v2
	v_ashrrev_i32_e32 v10, 31, v9
	s_delay_alu instid0(VALU_DEP_2) | instskip(NEXT) | instid1(VALU_DEP_2)
	v_ashrrev_i32_e32 v8, 31, v2
	v_lshrrev_b32_e32 v10, 23, v10
	s_delay_alu instid0(VALU_DEP_2) | instskip(NEXT) | instid1(VALU_DEP_2)
	v_lshrrev_b32_e32 v8, 27, v8
	v_add_nc_u32_e32 v10, v9, v10
	s_delay_alu instid0(VALU_DEP_2) | instskip(NEXT) | instid1(VALU_DEP_2)
	v_add_nc_u32_e32 v8, v2, v8
	v_and_b32_e32 v23, 0xfffffe00, v10
	v_ashrrev_i32_e32 v10, 9, v10
	s_delay_alu instid0(VALU_DEP_3) | instskip(NEXT) | instid1(VALU_DEP_3)
	v_and_b32_e32 v11, 0xffffffe0, v8
	v_sub_nc_u32_e32 v69, v9, v23
	s_delay_alu instid0(VALU_DEP_2) | instskip(SKIP_1) | instid1(VALU_DEP_3)
	v_sub_nc_u32_e32 v68, v2, v11
	v_ashrrev_i32_e32 v11, 5, v8
	v_cmp_lt_i32_e64 s13, 15, v69
	s_delay_alu instid0(VALU_DEP_3) | instskip(NEXT) | instid1(VALU_DEP_2)
	v_lshlrev_b32_e32 v2, 4, v68
	v_add_co_ci_u32_e64 v10, vcc_lo, 0, v10, s13
	s_delay_alu instid0(VALU_DEP_2) | instskip(NEXT) | instid1(VALU_DEP_2)
	v_lshl_add_u32 v8, v11, 9, v2
	v_sub_nc_u32_e32 v70, v10, v11
	s_delay_alu instid0(VALU_DEP_2) | instskip(NEXT) | instid1(VALU_DEP_1)
	v_sub_nc_u32_e32 v2, v9, v8
	v_cmpx_lt_i32_e32 15, v2
	s_cbranch_execz .LBB6_960
; %bb.954:                              ;   in Loop: Header=BB6_863 Depth=3
	s_cbranch_execnz .LBB6_1898
; %bb.955:                              ;   in Loop: Header=BB6_863 Depth=3
	ds_load_b64 v[9:10], v0
	ds_load_b128 v[80:83], v0
	v_add_nc_u32_e32 v8, v8, v22
	s_mov_b32 s42, 0
	s_delay_alu instid0(VALU_DEP_1) | instskip(SKIP_2) | instid1(VALU_DEP_2)
	v_ashrrev_i32_e32 v11, 31, v8
	s_waitcnt lgkmcnt(1)
	v_add_co_u32 v13, vcc_lo, v9, v8
	v_add_co_ci_u32_e32 v14, vcc_lo, v10, v11, vcc_lo
	s_waitcnt lgkmcnt(0)
	v_add_co_u32 v20, vcc_lo, v80, v8
	v_add_co_ci_u32_e32 v21, vcc_lo, v81, v11, vcc_lo
	v_add_co_u32 v71, vcc_lo, v82, v8
	v_add_co_ci_u32_e32 v80, vcc_lo, v83, v11, vcc_lo
.LBB6_956:                              ;   Parent Loop BB6_51 Depth=1
                                        ;     Parent Loop BB6_861 Depth=2
                                        ;       Parent Loop BB6_863 Depth=3
                                        ; =>      This Loop Header: Depth=4
                                        ;           Child Loop BB6_957 Depth 5
	global_load_b128 v[8:11], v[13:14], off slc dlc
	s_mov_b64 s[14:15], 0
	s_mov_b32 s43, -1
.LBB6_957:                              ;   Parent Loop BB6_51 Depth=1
                                        ;     Parent Loop BB6_861 Depth=2
                                        ;       Parent Loop BB6_863 Depth=3
                                        ;         Parent Loop BB6_956 Depth=4
                                        ; =>        This Inner Loop Header: Depth=5
	s_cmp_eq_u32 s14, 0
	v_cndmask_b32_e64 v83, 0, 1, s43
	s_cselect_b32 vcc_lo, -1, 0
	s_cmp_eq_u32 s14, 1
	s_mov_b32 s43, 0
	s_cselect_b32 s14, -1, 0
	s_delay_alu instid0(SALU_CYCLE_1) | instskip(SKIP_1) | instid1(VALU_DEP_2)
	v_cndmask_b32_e64 v81, v20, v71, s14
	v_cndmask_b32_e64 v82, v21, v80, s14
	v_add_co_u32 v84, s15, 0x200, v81
	s_delay_alu instid0(VALU_DEP_1) | instskip(SKIP_1) | instid1(VALU_DEP_3)
	v_add_co_ci_u32_e64 v85, s15, 0, v82, s15
	v_cmp_ne_u32_e64 s15, 1, v83
	v_cndmask_b32_e64 v71, v71, v84, s14
	v_cndmask_b32_e32 v20, v20, v84, vcc_lo
	s_delay_alu instid0(VALU_DEP_4)
	v_cndmask_b32_e64 v80, v80, v85, s14
	v_cndmask_b32_e32 v21, v21, v85, vcc_lo
	s_and_b32 vcc_lo, exec_lo, s15
	s_mov_b64 s[14:15], 1
	s_waitcnt vmcnt(0)
	global_store_b128 v[81:82], v[8:11], off glc slc dlc
	s_cbranch_vccz .LBB6_957
; %bb.958:                              ;   in Loop: Header=BB6_956 Depth=4
	v_add_co_u32 v20, vcc_lo, v20, v102
	v_sub_nc_u32_e32 v2, v2, v100
	v_add_co_ci_u32_e32 v21, vcc_lo, v21, v114, vcc_lo
	v_add_co_u32 v71, vcc_lo, v71, v102
	v_add_co_ci_u32_e32 v80, vcc_lo, v80, v114, vcc_lo
	s_delay_alu instid0(VALU_DEP_4) | instskip(SKIP_1) | instid1(VALU_DEP_1)
	v_cmp_gt_i32_e32 vcc_lo, 16, v2
	v_add_co_u32 v13, s14, v116, v13
	v_add_co_ci_u32_e64 v14, s14, v117, v14, s14
	v_sub_nc_u32_e32 v70, v70, v97
	s_or_b32 s42, vcc_lo, s42
	s_delay_alu instid0(SALU_CYCLE_1)
	s_and_not1_b32 exec_lo, exec_lo, s42
	s_cbranch_execnz .LBB6_956
; %bb.959:                              ;   in Loop: Header=BB6_863 Depth=3
	s_or_b32 exec_lo, exec_lo, s42
.LBB6_960:                              ;   in Loop: Header=BB6_863 Depth=3
	s_delay_alu instid0(SALU_CYCLE_1) | instskip(SKIP_3) | instid1(VALU_DEP_1)
	s_or_b32 exec_lo, exec_lo, s17
	v_dual_mov_b32 v2, 0 :: v_dual_and_b32 v9, 15, v19
	s_mov_b32 s14, 0
	s_mov_b32 s15, exec_lo
                                        ; implicit-def: $vgpr21
                                        ; implicit-def: $vgpr8
	v_cndmask_b32_e64 v20, v69, v9, s13
	s_delay_alu instid0(VALU_DEP_1)
	v_cmpx_ne_u32_e32 0, v20
	s_cbranch_execz .LBB6_962
; %bb.961:                              ;   in Loop: Header=BB6_863 Depth=3
	v_cmp_lt_i32_e32 vcc_lo, 0, v70
	v_sub_nc_u32_e32 v8, v69, v9
	s_mov_b32 s14, exec_lo
	v_cndmask_b32_e32 v2, 0, v97, vcc_lo
	s_delay_alu instid0(VALU_DEP_2) | instskip(NEXT) | instid1(VALU_DEP_2)
	v_cndmask_b32_e64 v8, 0, v8, s13
	v_sub_nc_u32_e32 v2, v2, v70
	s_delay_alu instid0(VALU_DEP_1) | instskip(NEXT) | instid1(VALU_DEP_1)
	v_lshl_add_u32 v21, v2, 5, v68
	v_ashrrev_i32_e32 v2, 31, v21
	s_delay_alu instid0(VALU_DEP_1) | instskip(NEXT) | instid1(VALU_DEP_1)
	v_lshrrev_b32_e32 v2, 27, v2
	v_add_nc_u32_e32 v9, v21, v2
	v_add3_u32 v2, v23, v22, v8
	s_delay_alu instid0(VALU_DEP_2)
	v_ashrrev_i32_e32 v8, 5, v9
.LBB6_962:                              ;   in Loop: Header=BB6_863 Depth=3
	s_or_b32 exec_lo, exec_lo, s15
	s_delay_alu instid0(SALU_CYCLE_1)
	s_and_b32 s13, s14, exec_lo
.LBB6_963:                              ;   in Loop: Header=BB6_863 Depth=3
	s_or_b32 exec_lo, exec_lo, s16
.LBB6_964:                              ;   in Loop: Header=BB6_863 Depth=3
	s_and_saveexec_b32 s15, s13
	s_cbranch_execz .LBB6_978
; %bb.965:                              ;   in Loop: Header=BB6_863 Depth=3
	v_ashrrev_i32_e32 v9, 31, v20
	s_mov_b32 s14, exec_lo
	s_delay_alu instid0(VALU_DEP_1) | instskip(NEXT) | instid1(VALU_DEP_1)
	v_lshrrev_b32_e32 v9, 22, v9
	v_add_nc_u32_e32 v9, v20, v9
	s_delay_alu instid0(VALU_DEP_1) | instskip(NEXT) | instid1(VALU_DEP_1)
	v_ashrrev_i32_e32 v23, 10, v9
	v_sub_nc_u32_e32 v22, v23, v8
	s_delay_alu instid0(VALU_DEP_1)
	v_cmpx_lt_i32_e32 0, v22
	s_cbranch_execz .LBB6_970
; %bb.966:                              ;   in Loop: Header=BB6_863 Depth=3
	s_cbranch_execnz .LBB6_1856
; %bb.967:                              ;   in Loop: Header=BB6_863 Depth=3
	v_ashrrev_i32_e32 v9, 31, v21
	v_lshlrev_b32_e32 v8, 10, v8
	s_mov_b32 s16, 0
	ds_load_b128 v[68:71], v0
	v_lshrrev_b32_e32 v9, 27, v9
	s_delay_alu instid0(VALU_DEP_1) | instskip(SKIP_2) | instid1(VALU_DEP_1)
	v_add_nc_u32_e32 v11, v21, v9
	ds_load_b64 v[9:10], v0
	v_and_b32_e32 v11, 0xffffffe0, v11
	v_sub_nc_u32_e32 v11, v21, v11
	s_delay_alu instid0(VALU_DEP_1) | instskip(NEXT) | instid1(VALU_DEP_1)
	v_add3_u32 v13, v2, v11, v8
	v_ashrrev_i32_e32 v14, 31, v13
	s_waitcnt lgkmcnt(0)
	v_add_co_u32 v80, vcc_lo, 0x3e0, v9
	v_add_co_ci_u32_e32 v81, vcc_lo, 0, v10, vcc_lo
	v_add_co_u32 v8, vcc_lo, v68, v13
	v_add_co_ci_u32_e32 v9, vcc_lo, v69, v14, vcc_lo
	;; [unrolled: 2-line block ×4, first 2 shown]
.LBB6_968:                              ;   Parent Loop BB6_51 Depth=1
                                        ;     Parent Loop BB6_861 Depth=2
                                        ;       Parent Loop BB6_863 Depth=3
                                        ; =>      This Inner Loop Header: Depth=4
	s_delay_alu instid0(VALU_DEP_2) | instskip(NEXT) | instid1(VALU_DEP_2)
	v_add_co_u32 v68, vcc_lo, 0xfffffc20, v13
	v_add_co_ci_u32_e32 v69, vcc_lo, -1, v14, vcc_lo
	v_add_co_u32 v70, vcc_lo, 0xfffffc40, v13
	v_add_co_ci_u32_e32 v71, vcc_lo, -1, v14, vcc_lo
	;; [unrolled: 2-line block ×31, first 2 shown]
	flat_load_u8 v151, v[13:14] slc dlc
	flat_load_u8 v68, v[68:69] slc dlc
	flat_load_u8 v69, v[70:71] slc dlc
	flat_load_u8 v70, v[80:81] slc dlc
	flat_load_u8 v71, v[82:83] slc dlc
	flat_load_u8 v80, v[84:85] slc dlc
	flat_load_u8 v81, v[147:148] slc dlc
	flat_load_u8 v82, v[149:150] slc dlc
	flat_load_u8 v83, v[160:161] slc dlc
	flat_load_u8 v84, v[162:163] slc dlc
	flat_load_u8 v85, v[164:165] slc dlc
	flat_load_u8 v147, v[166:167] slc dlc
	flat_load_u8 v148, v[176:177] slc dlc
	flat_load_u8 v149, v[178:179] slc dlc
	flat_load_u8 v150, v[180:181] slc dlc
	flat_load_u8 v160, v[182:183] slc dlc
	flat_load_u8 v161, v[40:41] slc dlc
	flat_load_u8 v162, v[42:43] slc dlc
	flat_load_u8 v163, v[44:45] slc dlc
	flat_load_u8 v164, v[46:47] slc dlc
	flat_load_u8 v165, v[56:57] slc dlc
	flat_load_u8 v166, v[58:59] slc dlc
	flat_load_u8 v167, v[60:61] slc dlc
	flat_load_u8 v176, v[62:63] slc dlc
	flat_load_u8 v177, v[72:73] slc dlc
	flat_load_u8 v178, v[74:75] slc dlc
	flat_load_u8 v179, v[76:77] slc dlc
	flat_load_u8 v180, v[78:79] slc dlc
	flat_load_u8 v181, v[88:89] slc dlc
	flat_load_u8 v182, v[90:91] slc dlc
	flat_load_u8 v183, v[92:93] slc dlc
	flat_load_u8 v40, v[94:95] slc dlc
	v_sub_nc_u32_e32 v22, v22, v97
	v_add_co_u32 v13, vcc_lo, v13, v119
	v_add_co_ci_u32_e32 v14, vcc_lo, v14, v128, vcc_lo
	s_delay_alu instid0(VALU_DEP_3)
	v_cmp_gt_i32_e32 vcc_lo, 1, v22
	s_waitcnt vmcnt(30) lgkmcnt(30)
	flat_store_b8 v[8:9], v68 glc slc dlc
	s_waitcnt vmcnt(29) lgkmcnt(30)
	flat_store_b8 v[8:9], v69 offset:32 glc slc dlc
	s_waitcnt vmcnt(28) lgkmcnt(30)
	flat_store_b8 v[8:9], v70 offset:64 glc slc dlc
	s_waitcnt vmcnt(27) lgkmcnt(30)
	flat_store_b8 v[8:9], v71 offset:96 glc slc dlc
	s_waitcnt vmcnt(26) lgkmcnt(30)
	flat_store_b8 v[8:9], v80 offset:128 glc slc dlc
	s_waitcnt vmcnt(25) lgkmcnt(30)
	flat_store_b8 v[8:9], v81 offset:160 glc slc dlc
	s_waitcnt vmcnt(24) lgkmcnt(30)
	flat_store_b8 v[8:9], v82 offset:192 glc slc dlc
	s_waitcnt vmcnt(23) lgkmcnt(30)
	flat_store_b8 v[8:9], v83 offset:224 glc slc dlc
	s_waitcnt vmcnt(22) lgkmcnt(30)
	flat_store_b8 v[8:9], v84 offset:256 glc slc dlc
	s_waitcnt vmcnt(21) lgkmcnt(30)
	flat_store_b8 v[8:9], v85 offset:288 glc slc dlc
	s_waitcnt vmcnt(20) lgkmcnt(30)
	flat_store_b8 v[8:9], v147 offset:320 glc slc dlc
	s_waitcnt vmcnt(19) lgkmcnt(30)
	flat_store_b8 v[8:9], v148 offset:352 glc slc dlc
	s_waitcnt vmcnt(18) lgkmcnt(30)
	flat_store_b8 v[8:9], v149 offset:384 glc slc dlc
	s_waitcnt vmcnt(17) lgkmcnt(30)
	flat_store_b8 v[8:9], v150 offset:416 glc slc dlc
	s_waitcnt vmcnt(16) lgkmcnt(30)
	flat_store_b8 v[8:9], v160 offset:448 glc slc dlc
	s_waitcnt vmcnt(15) lgkmcnt(30)
	flat_store_b8 v[8:9], v161 offset:480 glc slc dlc
	s_waitcnt vmcnt(14) lgkmcnt(30)
	flat_store_b8 v[8:9], v162 offset:512 glc slc dlc
	s_waitcnt vmcnt(13) lgkmcnt(30)
	flat_store_b8 v[8:9], v163 offset:544 glc slc dlc
	s_waitcnt vmcnt(12) lgkmcnt(30)
	flat_store_b8 v[8:9], v164 offset:576 glc slc dlc
	s_waitcnt vmcnt(11) lgkmcnt(30)
	flat_store_b8 v[8:9], v165 offset:608 glc slc dlc
	s_waitcnt vmcnt(10) lgkmcnt(30)
	flat_store_b8 v[8:9], v166 offset:640 glc slc dlc
	s_waitcnt vmcnt(9) lgkmcnt(30)
	flat_store_b8 v[8:9], v167 offset:672 glc slc dlc
	s_waitcnt vmcnt(8) lgkmcnt(30)
	flat_store_b8 v[8:9], v176 offset:704 glc slc dlc
	s_waitcnt vmcnt(7) lgkmcnt(30)
	flat_store_b8 v[8:9], v177 offset:736 glc slc dlc
	s_waitcnt vmcnt(6) lgkmcnt(30)
	flat_store_b8 v[8:9], v178 offset:768 glc slc dlc
	s_waitcnt vmcnt(5) lgkmcnt(30)
	flat_store_b8 v[8:9], v179 offset:800 glc slc dlc
	s_waitcnt vmcnt(4) lgkmcnt(30)
	flat_store_b8 v[8:9], v180 offset:832 glc slc dlc
	s_waitcnt vmcnt(3) lgkmcnt(30)
	flat_store_b8 v[8:9], v181 offset:864 glc slc dlc
	s_waitcnt vmcnt(2) lgkmcnt(30)
	flat_store_b8 v[8:9], v182 offset:896 glc slc dlc
	s_waitcnt vmcnt(1) lgkmcnt(30)
	flat_store_b8 v[8:9], v183 offset:928 glc slc dlc
	s_waitcnt vmcnt(0) lgkmcnt(30)
	s_clause 0x1
	flat_store_b8 v[8:9], v40 offset:960 glc slc dlc
	flat_store_b8 v[8:9], v151 offset:992 glc slc dlc
	s_clause 0x1f
	flat_store_b8 v[10:11], v68 glc slc dlc
	flat_store_b8 v[10:11], v69 offset:32 glc slc dlc
	flat_store_b8 v[10:11], v70 offset:64 glc slc dlc
	;; [unrolled: 1-line block ×31, first 2 shown]
	v_add_co_u32 v8, s13, v8, v119
	s_delay_alu instid0(VALU_DEP_1) | instskip(SKIP_1) | instid1(VALU_DEP_1)
	v_add_co_ci_u32_e64 v9, s13, v9, v128, s13
	v_add_co_u32 v10, s13, v10, v119
	v_add_co_ci_u32_e64 v11, s13, v11, v128, s13
	s_or_b32 s16, vcc_lo, s16
	s_delay_alu instid0(SALU_CYCLE_1)
	s_and_not1_b32 exec_lo, exec_lo, s16
	s_cbranch_execnz .LBB6_968
; %bb.969:                              ;   in Loop: Header=BB6_863 Depth=3
	s_or_b32 exec_lo, exec_lo, s16
.LBB6_970:                              ;   in Loop: Header=BB6_863 Depth=3
	s_delay_alu instid0(SALU_CYCLE_1) | instskip(SKIP_2) | instid1(VALU_DEP_1)
	s_or_b32 exec_lo, exec_lo, s14
	v_lshlrev_b32_e32 v8, 10, v23
	s_mov_b32 s42, exec_lo
	v_cmpx_ne_u32_e64 v20, v8
	s_cbranch_execz .LBB6_977
; %bb.971:                              ;   in Loop: Header=BB6_863 Depth=3
	v_ashrrev_i32_e32 v9, 31, v21
	v_lshlrev_b32_e32 v10, 5, v22
	s_delay_alu instid0(VALU_DEP_2) | instskip(NEXT) | instid1(VALU_DEP_1)
	v_lshrrev_b32_e32 v9, 27, v9
	v_add_nc_u32_e32 v9, v21, v9
	s_delay_alu instid0(VALU_DEP_1) | instskip(NEXT) | instid1(VALU_DEP_1)
	v_and_b32_e32 v9, 0xffffffe0, v9
	v_sub_nc_u32_e32 v9, v21, v9
	s_delay_alu instid0(VALU_DEP_1) | instskip(NEXT) | instid1(VALU_DEP_1)
	v_sub_nc_u32_e32 v9, v9, v10
	v_add_nc_u32_e32 v8, v8, v9
	s_delay_alu instid0(VALU_DEP_1) | instskip(NEXT) | instid1(VALU_DEP_1)
	v_sub_nc_u32_e32 v10, v20, v8
	v_cmp_lt_i32_e32 vcc_lo, 0, v10
	s_and_b32 exec_lo, exec_lo, vcc_lo
	s_cbranch_execz .LBB6_977
; %bb.972:                              ;   in Loop: Header=BB6_863 Depth=3
	s_cbranch_execnz .LBB6_1892
; %bb.973:                              ;   in Loop: Header=BB6_863 Depth=3
	ds_load_b64 v[13:14], v0
	ds_load_b128 v[20:23], v0
	v_add_nc_u32_e32 v68, v8, v2
	s_mov_b32 s43, 0
	s_delay_alu instid0(VALU_DEP_1) | instskip(SKIP_2) | instid1(VALU_DEP_2)
	v_ashrrev_i32_e32 v69, 31, v68
	s_waitcnt lgkmcnt(1)
	v_add_co_u32 v8, vcc_lo, v13, v68
	v_add_co_ci_u32_e32 v9, vcc_lo, v14, v69, vcc_lo
	s_waitcnt lgkmcnt(0)
	v_add_co_u32 v2, vcc_lo, v20, v68
	v_add_co_ci_u32_e32 v11, vcc_lo, v21, v69, vcc_lo
	v_add_co_u32 v13, vcc_lo, v22, v68
	v_add_co_ci_u32_e32 v14, vcc_lo, v23, v69, vcc_lo
	s_set_inst_prefetch_distance 0x1
.LBB6_974:                              ;   Parent Loop BB6_51 Depth=1
                                        ;     Parent Loop BB6_861 Depth=2
                                        ;       Parent Loop BB6_863 Depth=3
                                        ; =>      This Loop Header: Depth=4
                                        ;           Child Loop BB6_975 Depth 5
	flat_load_u8 v20, v[8:9] slc dlc
	s_mov_b64 s[16:17], 0
	s_mov_b32 s44, -1
.LBB6_975:                              ;   Parent Loop BB6_51 Depth=1
                                        ;     Parent Loop BB6_861 Depth=2
                                        ;       Parent Loop BB6_863 Depth=3
                                        ;         Parent Loop BB6_974 Depth=4
                                        ; =>        This Inner Loop Header: Depth=5
	s_cmp_eq_u32 s16, 1
	s_cselect_b32 vcc_lo, -1, 0
	s_cmp_eq_u32 s16, 0
	v_dual_cndmask_b32 v22, v11, v14 :: v_dual_cndmask_b32 v21, v2, v13
	s_mov_b64 s[16:17], 1
	s_delay_alu instid0(VALU_DEP_1) | instskip(NEXT) | instid1(VALU_DEP_1)
	v_add_co_u32 v23, s13, v21, 32
	v_add_co_ci_u32_e64 v68, s13, 0, v22, s13
	s_cselect_b32 s13, -1, 0
	s_and_b32 s14, exec_lo, s44
	s_delay_alu instid0(VALU_DEP_1)
	v_dual_cndmask_b32 v13, v13, v23 :: v_dual_cndmask_b32 v14, v14, v68
	v_cndmask_b32_e64 v11, v11, v68, s13
	v_cndmask_b32_e64 v2, v2, v23, s13
	s_mov_b32 s44, 0
	s_mov_b32 vcc_lo, s14
	s_waitcnt vmcnt(0) lgkmcnt(0)
	flat_store_b8 v[21:22], v20 glc slc dlc
	s_cbranch_vccnz .LBB6_975
; %bb.976:                              ;   in Loop: Header=BB6_974 Depth=4
	v_add_co_u32 v2, vcc_lo, v2, v118
	v_sub_nc_u32_e32 v10, v10, v115
	v_add_co_ci_u32_e32 v11, vcc_lo, v11, v129, vcc_lo
	v_add_co_u32 v13, vcc_lo, v13, v118
	v_add_co_ci_u32_e32 v14, vcc_lo, v14, v129, vcc_lo
	s_delay_alu instid0(VALU_DEP_4) | instskip(SKIP_1) | instid1(VALU_DEP_1)
	v_cmp_gt_i32_e32 vcc_lo, 1, v10
	v_add_co_u32 v8, s13, v130, v8
	v_add_co_ci_u32_e64 v9, s13, v131, v9, s13
	s_or_b32 s43, vcc_lo, s43
	s_delay_alu instid0(SALU_CYCLE_1)
	s_and_not1_b32 exec_lo, exec_lo, s43
	s_cbranch_execnz .LBB6_974
.LBB6_977:                              ;   in Loop: Header=BB6_863 Depth=3
	s_set_inst_prefetch_distance 0x2
	s_or_b32 exec_lo, exec_lo, s42
.LBB6_978:                              ;   in Loop: Header=BB6_863 Depth=3
	s_delay_alu instid0(SALU_CYCLE_1)
	s_or_b32 exec_lo, exec_lo, s15
	s_mov_b32 s13, 0
	s_branch .LBB6_980
.LBB6_979:                              ;   in Loop: Header=BB6_863 Depth=3
	s_mov_b32 s13, -1
.LBB6_980:                              ;   in Loop: Header=BB6_863 Depth=3
	s_delay_alu instid0(SALU_CYCLE_1)
	s_and_b32 vcc_lo, exec_lo, s13
	s_cbranch_vccz .LBB6_1014
; %bb.981:                              ;   in Loop: Header=BB6_863 Depth=3
	s_mov_b32 s13, -1
	s_and_saveexec_b32 s14, s6
	s_cbranch_execz .LBB6_983
; %bb.982:                              ;   in Loop: Header=BB6_863 Depth=3
	ds_load_b32 v2, v0 offset:720
	s_waitcnt lgkmcnt(0)
	v_and_b32_e32 v2, 15, v2
	s_delay_alu instid0(VALU_DEP_1)
	v_cmp_eq_u32_e32 vcc_lo, 0, v2
	s_or_not1_b32 s13, vcc_lo, exec_lo
.LBB6_983:                              ;   in Loop: Header=BB6_863 Depth=3
	s_or_b32 exec_lo, exec_lo, s14
	s_and_saveexec_b32 s14, s5
	s_cbranch_execz .LBB6_985
; %bb.984:                              ;   in Loop: Header=BB6_863 Depth=3
	ds_load_b32 v2, v0 offset:784
	s_waitcnt lgkmcnt(0)
	v_and_b32_e32 v2, 15, v2
	s_delay_alu instid0(VALU_DEP_1) | instskip(SKIP_3) | instid1(SALU_CYCLE_1)
	v_cmp_eq_u32_e32 vcc_lo, 0, v2
	s_and_b32 s15, s13, vcc_lo
	s_and_not1_b32 s13, s13, exec_lo
	s_and_b32 s15, s15, exec_lo
	s_or_b32 s13, s13, s15
.LBB6_985:                              ;   in Loop: Header=BB6_863 Depth=3
	s_or_b32 exec_lo, exec_lo, s14
	s_xor_b32 s13, s13, -1
	v_mov_b32_e32 v14, v0
	v_cndmask_b32_e64 v2, 0, 1, s13
	;;#ASMSTART
	;;#ASMEND
	s_delay_alu instid0(VALU_DEP_1)
	v_cmp_ne_u32_e32 vcc_lo, 0, v2
	v_dual_mov_b32 v2, 0 :: v_dual_mov_b32 v13, v19
	v_mov_b32_e32 v22, v98
	s_mov_b32 s13, -1
	s_cbranch_vccnz .LBB6_1001
; %bb.986:                              ;   in Loop: Header=BB6_863 Depth=3
	v_ashrrev_i32_e32 v2, 31, v19
	s_mov_b32 s13, exec_lo
	s_delay_alu instid0(VALU_DEP_1) | instskip(NEXT) | instid1(VALU_DEP_1)
	v_lshrrev_b32_e32 v2, 20, v2
	v_add_nc_u32_e32 v2, v19, v2
	s_delay_alu instid0(VALU_DEP_1) | instskip(NEXT) | instid1(VALU_DEP_1)
	v_ashrrev_i32_e32 v2, 12, v2
	v_sub_nc_u32_e32 v20, v2, v98
	s_delay_alu instid0(VALU_DEP_1)
	v_cmpx_lt_i32_e32 0, v20
	s_cbranch_execz .LBB6_991
; %bb.987:                              ;   in Loop: Header=BB6_863 Depth=3
	s_cbranch_execnz .LBB6_1876
; %bb.988:                              ;   in Loop: Header=BB6_863 Depth=3
	ds_load_b64 v[8:9], v0
	s_mov_b32 s14, 0
	s_waitcnt lgkmcnt(0)
	v_dual_mov_b32 v11, v9 :: v_dual_mov_b32 v10, v8
.LBB6_989:                              ;   Parent Loop BB6_51 Depth=1
                                        ;     Parent Loop BB6_861 Depth=2
                                        ;       Parent Loop BB6_863 Depth=3
                                        ; =>      This Inner Loop Header: Depth=4
	s_delay_alu instid0(VALU_DEP_1) | instskip(NEXT) | instid1(VALU_DEP_2)
	v_add_co_u32 v13, vcc_lo, v101, v10
	v_add_co_ci_u32_e32 v14, vcc_lo, v103, v11, vcc_lo
	v_sub_nc_u32_e32 v20, v20, v97
	s_clause 0x7
	global_load_b128 v[68:71], v[13:14], off slc dlc
	global_load_b128 v[80:83], v[13:14], off offset:512 slc dlc
	global_load_b128 v[147:150], v[13:14], off offset:1024 slc dlc
	;; [unrolled: 1-line block ×7, first 2 shown]
	v_add_co_u32 v13, vcc_lo, v101, v8
	v_add_co_ci_u32_e32 v14, vcc_lo, v103, v9, vcc_lo
	v_add_co_u32 v10, vcc_lo, v10, v112
	v_add_co_ci_u32_e32 v11, vcc_lo, v11, v113, vcc_lo
	;; [unrolled: 2-line block ×3, first 2 shown]
	v_cmp_gt_i32_e32 vcc_lo, 1, v20
	s_waitcnt vmcnt(7)
	global_store_b128 v[13:14], v[68:71], off glc slc dlc
	s_waitcnt vmcnt(6)
	global_store_b128 v[13:14], v[80:83], off offset:512 glc slc dlc
	s_waitcnt vmcnt(5)
	global_store_b128 v[13:14], v[147:150], off offset:1024 glc slc dlc
	;; [unrolled: 2-line block ×7, first 2 shown]
	s_or_b32 s14, vcc_lo, s14
	s_delay_alu instid0(SALU_CYCLE_1)
	s_and_not1_b32 exec_lo, exec_lo, s14
	s_cbranch_execnz .LBB6_989
; %bb.990:                              ;   in Loop: Header=BB6_863 Depth=3
	s_or_b32 exec_lo, exec_lo, s14
.LBB6_991:                              ;   in Loop: Header=BB6_863 Depth=3
	s_delay_alu instid0(SALU_CYCLE_1) | instskip(SKIP_4) | instid1(VALU_DEP_2)
	s_or_b32 exec_lo, exec_lo, s13
	v_lshlrev_b32_e32 v10, 12, v2
	v_mov_b32_e32 v2, 0
	s_mov_b32 s13, 0
	s_mov_b32 s15, exec_lo
                                        ; implicit-def: $vgpr13
                                        ; implicit-def: $vgpr14
                                        ; implicit-def: $vgpr22
	v_cmpx_ne_u32_e64 v19, v10
	s_cbranch_execz .LBB6_1000
; %bb.992:                              ;   in Loop: Header=BB6_863 Depth=3
	v_lshlrev_b32_e32 v2, 5, v20
	v_sub_nc_u32_e32 v9, v19, v10
	s_mov_b32 s16, exec_lo
	s_delay_alu instid0(VALU_DEP_2) | instskip(NEXT) | instid1(VALU_DEP_2)
	v_sub_nc_u32_e32 v2, v99, v2
	v_ashrrev_i32_e32 v11, 31, v9
	s_delay_alu instid0(VALU_DEP_2) | instskip(NEXT) | instid1(VALU_DEP_2)
	v_ashrrev_i32_e32 v8, 31, v2
	v_lshrrev_b32_e32 v11, 23, v11
	s_delay_alu instid0(VALU_DEP_2) | instskip(NEXT) | instid1(VALU_DEP_2)
	v_lshrrev_b32_e32 v8, 27, v8
	v_add_nc_u32_e32 v14, v9, v11
	s_delay_alu instid0(VALU_DEP_2) | instskip(NEXT) | instid1(VALU_DEP_2)
	v_add_nc_u32_e32 v8, v2, v8
	v_and_b32_e32 v11, 0xfffffe00, v14
	v_ashrrev_i32_e32 v14, 9, v14
	s_delay_alu instid0(VALU_DEP_3) | instskip(NEXT) | instid1(VALU_DEP_3)
	v_and_b32_e32 v13, 0xffffffe0, v8
	v_sub_nc_u32_e32 v21, v9, v11
	v_ashrrev_i32_e32 v8, 5, v8
	s_delay_alu instid0(VALU_DEP_3) | instskip(NEXT) | instid1(VALU_DEP_3)
	v_sub_nc_u32_e32 v20, v2, v13
	v_cmp_lt_i32_e32 vcc_lo, 15, v21
	s_delay_alu instid0(VALU_DEP_2) | instskip(SKIP_1) | instid1(VALU_DEP_2)
	v_lshlrev_b32_e32 v2, 4, v20
	v_add_co_ci_u32_e64 v14, s13, 0, v14, vcc_lo
	v_lshl_add_u32 v13, v8, 9, v2
	s_delay_alu instid0(VALU_DEP_2) | instskip(NEXT) | instid1(VALU_DEP_2)
	v_sub_nc_u32_e32 v23, v14, v8
	v_sub_nc_u32_e32 v2, v9, v13
	s_delay_alu instid0(VALU_DEP_1)
	v_cmpx_lt_i32_e32 15, v2
	s_cbranch_execz .LBB6_997
; %bb.993:                              ;   in Loop: Header=BB6_863 Depth=3
	s_cbranch_execnz .LBB6_1906
; %bb.994:                              ;   in Loop: Header=BB6_863 Depth=3
	ds_load_b64 v[8:9], v0
	v_add_nc_u32_e32 v13, v13, v10
	s_mov_b32 s17, 0
	s_delay_alu instid0(VALU_DEP_1)
	v_ashrrev_i32_e32 v14, 31, v13
.LBB6_995:                              ;   Parent Loop BB6_51 Depth=1
                                        ;     Parent Loop BB6_861 Depth=2
                                        ;       Parent Loop BB6_863 Depth=3
                                        ; =>      This Inner Loop Header: Depth=4
	s_waitcnt lgkmcnt(0)
	v_add_co_u32 v80, s13, v8, v13
	s_delay_alu instid0(VALU_DEP_1)
	v_add_co_ci_u32_e64 v81, s13, v9, v14, s13
	v_sub_nc_u32_e32 v2, v2, v100
	v_add_co_u32 v13, s14, v13, v116
	global_load_b128 v[68:71], v[80:81], off slc dlc
	v_sub_nc_u32_e32 v23, v23, v97
	v_cmp_gt_i32_e64 s13, 16, v2
	v_add_co_ci_u32_e64 v14, s14, v14, v117, s14
	s_delay_alu instid0(VALU_DEP_2)
	s_or_b32 s17, s13, s17
	s_waitcnt vmcnt(0)
	global_store_b128 v[80:81], v[68:71], off glc slc dlc
	s_and_not1_b32 exec_lo, exec_lo, s17
	s_cbranch_execnz .LBB6_995
; %bb.996:                              ;   in Loop: Header=BB6_863 Depth=3
	s_or_b32 exec_lo, exec_lo, s17
.LBB6_997:                              ;   in Loop: Header=BB6_863 Depth=3
	s_delay_alu instid0(SALU_CYCLE_1) | instskip(SKIP_3) | instid1(VALU_DEP_1)
	s_or_b32 exec_lo, exec_lo, s16
	v_and_b32_e32 v8, 15, v19
	s_mov_b32 s14, 0
	s_mov_b32 s16, exec_lo
                                        ; implicit-def: $vgpr14
                                        ; implicit-def: $vgpr22
	v_dual_mov_b32 v2, 0 :: v_dual_cndmask_b32 v13, v21, v8
	s_delay_alu instid0(VALU_DEP_1)
	v_cmpx_ne_u32_e32 0, v13
; %bb.998:                              ;   in Loop: Header=BB6_863 Depth=3
	v_cmp_lt_i32_e64 s13, 0, v23
	v_sub_nc_u32_e32 v8, v21, v8
	s_mov_b32 s14, exec_lo
	s_delay_alu instid0(VALU_DEP_2) | instskip(NEXT) | instid1(VALU_DEP_1)
	v_cndmask_b32_e64 v2, 0, v97, s13
	v_sub_nc_u32_e32 v2, v2, v23
	s_delay_alu instid0(VALU_DEP_1) | instskip(NEXT) | instid1(VALU_DEP_1)
	v_lshl_add_u32 v14, v2, 5, v20
	v_ashrrev_i32_e32 v2, 31, v14
	s_delay_alu instid0(VALU_DEP_1) | instskip(NEXT) | instid1(VALU_DEP_1)
	v_lshrrev_b32_e32 v2, 27, v2
	v_dual_cndmask_b32 v8, 0, v8 :: v_dual_add_nc_u32 v9, v14, v2
	s_delay_alu instid0(VALU_DEP_1) | instskip(NEXT) | instid1(VALU_DEP_2)
	v_add3_u32 v2, v11, v10, v8
	v_ashrrev_i32_e32 v22, 5, v9
; %bb.999:                              ;   in Loop: Header=BB6_863 Depth=3
	s_or_b32 exec_lo, exec_lo, s16
	s_delay_alu instid0(SALU_CYCLE_1)
	s_and_b32 s13, s14, exec_lo
.LBB6_1000:                             ;   in Loop: Header=BB6_863 Depth=3
	s_or_b32 exec_lo, exec_lo, s15
.LBB6_1001:                             ;   in Loop: Header=BB6_863 Depth=3
	s_and_saveexec_b32 s14, s13
	s_cbranch_execz .LBB6_1013
; %bb.1002:                             ;   in Loop: Header=BB6_863 Depth=3
	v_ashrrev_i32_e32 v8, 31, v13
	s_mov_b32 s13, exec_lo
	s_delay_alu instid0(VALU_DEP_1) | instskip(NEXT) | instid1(VALU_DEP_1)
	v_lshrrev_b32_e32 v8, 22, v8
	v_add_nc_u32_e32 v8, v13, v8
	s_delay_alu instid0(VALU_DEP_1) | instskip(NEXT) | instid1(VALU_DEP_1)
	v_ashrrev_i32_e32 v21, 10, v8
	v_sub_nc_u32_e32 v20, v21, v22
	s_delay_alu instid0(VALU_DEP_1)
	v_cmpx_lt_i32_e32 0, v20
	s_cbranch_execz .LBB6_1007
; %bb.1003:                             ;   in Loop: Header=BB6_863 Depth=3
	s_cbranch_execnz .LBB6_1866
; %bb.1004:                             ;   in Loop: Header=BB6_863 Depth=3
	v_ashrrev_i32_e32 v8, 31, v14
	s_mov_b32 s15, 0
	s_delay_alu instid0(VALU_DEP_1) | instskip(NEXT) | instid1(VALU_DEP_1)
	v_lshrrev_b32_e32 v8, 27, v8
	v_add_nc_u32_e32 v10, v14, v8
	ds_load_b64 v[8:9], v0
	v_lshlrev_b32_e32 v11, 10, v22
	v_and_b32_e32 v10, 0xffffffe0, v10
	s_delay_alu instid0(VALU_DEP_1) | instskip(NEXT) | instid1(VALU_DEP_1)
	v_sub_nc_u32_e32 v10, v14, v10
	v_add3_u32 v22, v2, v10, v11
	s_delay_alu instid0(VALU_DEP_1)
	v_ashrrev_i32_e32 v23, 31, v22
	s_waitcnt lgkmcnt(0)
	v_dual_mov_b32 v11, v9 :: v_dual_mov_b32 v10, v8
.LBB6_1005:                             ;   Parent Loop BB6_51 Depth=1
                                        ;     Parent Loop BB6_861 Depth=2
                                        ;       Parent Loop BB6_863 Depth=3
                                        ; =>      This Inner Loop Header: Depth=4
	s_delay_alu instid0(VALU_DEP_1) | instskip(NEXT) | instid1(VALU_DEP_2)
	v_add_co_u32 v68, vcc_lo, v22, v10
	v_add_co_ci_u32_e32 v69, vcc_lo, v23, v11, vcc_lo
	v_sub_nc_u32_e32 v20, v20, v97
	s_clause 0x1f
	flat_load_u8 v70, v[68:69] slc dlc
	flat_load_u8 v71, v[68:69] offset:32 slc dlc
	flat_load_u8 v80, v[68:69] offset:64 slc dlc
	flat_load_u8 v81, v[68:69] offset:96 slc dlc
	flat_load_u8 v82, v[68:69] offset:128 slc dlc
	flat_load_u8 v83, v[68:69] offset:160 slc dlc
	flat_load_u8 v84, v[68:69] offset:192 slc dlc
	flat_load_u8 v85, v[68:69] offset:224 slc dlc
	flat_load_u8 v147, v[68:69] offset:256 slc dlc
	flat_load_u8 v148, v[68:69] offset:288 slc dlc
	flat_load_u8 v149, v[68:69] offset:320 slc dlc
	flat_load_u8 v150, v[68:69] offset:352 slc dlc
	flat_load_u8 v151, v[68:69] offset:384 slc dlc
	flat_load_u8 v160, v[68:69] offset:416 slc dlc
	flat_load_u8 v161, v[68:69] offset:448 slc dlc
	flat_load_u8 v162, v[68:69] offset:480 slc dlc
	flat_load_u8 v163, v[68:69] offset:512 slc dlc
	flat_load_u8 v164, v[68:69] offset:544 slc dlc
	flat_load_u8 v165, v[68:69] offset:576 slc dlc
	flat_load_u8 v166, v[68:69] offset:608 slc dlc
	flat_load_u8 v167, v[68:69] offset:640 slc dlc
	flat_load_u8 v176, v[68:69] offset:672 slc dlc
	flat_load_u8 v177, v[68:69] offset:704 slc dlc
	flat_load_u8 v178, v[68:69] offset:736 slc dlc
	flat_load_u8 v179, v[68:69] offset:768 slc dlc
	flat_load_u8 v180, v[68:69] offset:800 slc dlc
	flat_load_u8 v181, v[68:69] offset:832 slc dlc
	flat_load_u8 v182, v[68:69] offset:864 slc dlc
	flat_load_u8 v183, v[68:69] offset:896 slc dlc
	flat_load_u8 v40, v[68:69] offset:928 slc dlc
	flat_load_u8 v41, v[68:69] offset:960 slc dlc
	flat_load_u8 v42, v[68:69] offset:992 slc dlc
	v_add_co_u32 v68, vcc_lo, v22, v8
	v_add_co_ci_u32_e32 v69, vcc_lo, v23, v9, vcc_lo
	v_add_co_u32 v10, vcc_lo, v10, v119
	v_add_co_ci_u32_e32 v11, vcc_lo, v11, v128, vcc_lo
	;; [unrolled: 2-line block ×3, first 2 shown]
	v_cmp_gt_i32_e32 vcc_lo, 1, v20
	s_waitcnt vmcnt(31) lgkmcnt(31)
	flat_store_b8 v[68:69], v70 glc slc dlc
	s_waitcnt vmcnt(30) lgkmcnt(31)
	flat_store_b8 v[68:69], v71 offset:32 glc slc dlc
	s_waitcnt vmcnt(29) lgkmcnt(31)
	flat_store_b8 v[68:69], v80 offset:64 glc slc dlc
	;; [unrolled: 2-line block ×31, first 2 shown]
	s_or_b32 s15, vcc_lo, s15
	s_delay_alu instid0(SALU_CYCLE_1)
	s_and_not1_b32 exec_lo, exec_lo, s15
	s_cbranch_execnz .LBB6_1005
; %bb.1006:                             ;   in Loop: Header=BB6_863 Depth=3
	s_or_b32 exec_lo, exec_lo, s15
.LBB6_1007:                             ;   in Loop: Header=BB6_863 Depth=3
	s_delay_alu instid0(SALU_CYCLE_1) | instskip(SKIP_2) | instid1(VALU_DEP_1)
	s_or_b32 exec_lo, exec_lo, s13
	v_lshlrev_b32_e32 v8, 10, v21
	s_mov_b32 s15, exec_lo
	v_cmpx_ne_u32_e64 v13, v8
	s_cbranch_execz .LBB6_1012
; %bb.1008:                             ;   in Loop: Header=BB6_863 Depth=3
	v_ashrrev_i32_e32 v9, 31, v14
	v_lshlrev_b32_e32 v10, 5, v20
	s_delay_alu instid0(VALU_DEP_2) | instskip(NEXT) | instid1(VALU_DEP_1)
	v_lshrrev_b32_e32 v9, 27, v9
	v_add_nc_u32_e32 v9, v14, v9
	s_delay_alu instid0(VALU_DEP_1) | instskip(NEXT) | instid1(VALU_DEP_1)
	v_and_b32_e32 v9, 0xffffffe0, v9
	v_sub_nc_u32_e32 v9, v14, v9
	s_delay_alu instid0(VALU_DEP_1) | instskip(NEXT) | instid1(VALU_DEP_1)
	v_sub_nc_u32_e32 v9, v9, v10
	v_add_nc_u32_e32 v11, v8, v9
	s_delay_alu instid0(VALU_DEP_1) | instskip(NEXT) | instid1(VALU_DEP_1)
	v_sub_nc_u32_e32 v10, v13, v11
	v_cmp_lt_i32_e32 vcc_lo, 0, v10
	s_and_b32 exec_lo, exec_lo, vcc_lo
	s_cbranch_execz .LBB6_1012
; %bb.1009:                             ;   in Loop: Header=BB6_863 Depth=3
	s_cbranch_execnz .LBB6_1902
; %bb.1010:                             ;   in Loop: Header=BB6_863 Depth=3
	ds_load_b64 v[8:9], v0
	v_add_nc_u32_e32 v2, v11, v2
	s_mov_b32 s16, 0
	s_delay_alu instid0(VALU_DEP_1)
	v_ashrrev_i32_e32 v11, 31, v2
.LBB6_1011:                             ;   Parent Loop BB6_51 Depth=1
                                        ;     Parent Loop BB6_861 Depth=2
                                        ;       Parent Loop BB6_863 Depth=3
                                        ; =>      This Inner Loop Header: Depth=4
	s_waitcnt lgkmcnt(0)
	v_add_co_u32 v13, vcc_lo, v8, v2
	s_delay_alu instid0(VALU_DEP_2)
	v_add_co_ci_u32_e32 v14, vcc_lo, v9, v11, vcc_lo
	v_sub_nc_u32_e32 v10, v10, v115
	v_add_co_u32 v2, s13, v2, v130
	flat_load_u8 v20, v[13:14] slc dlc
	v_add_co_ci_u32_e64 v11, s13, v11, v131, s13
	v_cmp_gt_i32_e32 vcc_lo, 1, v10
	s_or_b32 s16, vcc_lo, s16
	s_waitcnt vmcnt(0) lgkmcnt(0)
	flat_store_b8 v[13:14], v20 glc slc dlc
	s_and_not1_b32 exec_lo, exec_lo, s16
	s_cbranch_execnz .LBB6_1011
.LBB6_1012:                             ;   in Loop: Header=BB6_863 Depth=3
	s_or_b32 exec_lo, exec_lo, s15
.LBB6_1013:                             ;   in Loop: Header=BB6_863 Depth=3
	s_delay_alu instid0(SALU_CYCLE_1)
	s_or_b32 exec_lo, exec_lo, s14
.LBB6_1014:                             ;   in Loop: Header=BB6_863 Depth=3
	s_and_saveexec_b32 s13, s3
	s_cbranch_execz .LBB6_1036
; %bb.1015:                             ;   in Loop: Header=BB6_863 Depth=3
	s_and_saveexec_b32 s14, s4
	s_delay_alu instid0(SALU_CYCLE_1)
	s_xor_b32 s14, exec_lo, s14
	s_cbranch_execz .LBB6_1033
; %bb.1016:                             ;   in Loop: Header=BB6_863 Depth=3
	s_and_saveexec_b32 s15, s1
	s_cbranch_execz .LBB6_1032
; %bb.1017:                             ;   in Loop: Header=BB6_863 Depth=3
	s_mov_b32 s17, exec_lo
	s_mov_b32 s16, exec_lo
	v_mbcnt_lo_u32_b32 v2, s17, 0
	s_waitcnt lgkmcnt(0)
	s_waitcnt_vscnt null, 0x0
	buffer_gl1_inv
	buffer_gl0_inv
	v_cmpx_eq_u32_e32 0, v2
	s_cbranch_execz .LBB6_1019
; %bb.1018:                             ;   in Loop: Header=BB6_863 Depth=3
	s_bcnt1_i32_b32 s17, s17
	s_delay_alu instid0(SALU_CYCLE_1)
	v_mov_b32_e32 v2, s17
	ds_add_u64 v0, v[2:3]
	s_cbranch_execnz .LBB6_1850
.LBB6_1019:                             ;   in Loop: Header=BB6_863 Depth=3
	s_or_b32 exec_lo, exec_lo, s16
	s_cbranch_execnz .LBB6_1828
; %bb.1020:                             ;   in Loop: Header=BB6_863 Depth=3
	ds_load_b64 v[8:9], v0
	v_add_co_u32 v48, vcc_lo, v48, v97
	v_add_co_ci_u32_e32 v49, vcc_lo, 0, v49, vcc_lo
	s_mov_b32 s16, exec_lo
	s_waitcnt lgkmcnt(0)
	s_delay_alu instid0(VALU_DEP_1)
	v_cmpx_lt_u64_e64 v[8:9], v[48:49]
	s_cbranch_execz .LBB6_1031
; %bb.1021:                             ;   in Loop: Header=BB6_863 Depth=3
	s_mov_b32 s17, 0
	s_mov_b32 s44, 0
                                        ; implicit-def: $sgpr42
                                        ; implicit-def: $sgpr43
	s_branch .LBB6_1023
.LBB6_1022:                             ;   in Loop: Header=BB6_1023 Depth=4
	s_or_b32 exec_lo, exec_lo, s46
	s_delay_alu instid0(SALU_CYCLE_1) | instskip(NEXT) | instid1(SALU_CYCLE_1)
	s_and_b32 vcc_lo, exec_lo, vcc_lo
	s_or_b32 s17, vcc_lo, s17
	s_and_not1_b32 vcc_lo, s42, exec_lo
	s_and_b32 s42, s43, exec_lo
	s_delay_alu instid0(SALU_CYCLE_1)
	s_or_b32 s42, vcc_lo, s42
	s_and_not1_b32 exec_lo, exec_lo, s17
	s_cbranch_execz .LBB6_1029
.LBB6_1023:                             ;   Parent Loop BB6_51 Depth=1
                                        ;     Parent Loop BB6_861 Depth=2
                                        ;       Parent Loop BB6_863 Depth=3
                                        ; =>      This Inner Loop Header: Depth=4
	s_add_i32 s44, s44, 1
                                        ; implicit-def: $sgpr46
	s_delay_alu instid0(SALU_CYCLE_1) | instskip(SKIP_1) | instid1(SALU_CYCLE_1)
	s_cmpk_lg_i32 s44, 0x2710
	s_cselect_b32 s45, -1, 0
	s_and_b32 vcc_lo, exec_lo, s45
	s_cbranch_vccz .LBB6_1027
.LBB6_1024:                             ;   in Loop: Header=BB6_1023 Depth=4
	s_and_not1_b32 s43, s43, exec_lo
	s_and_b32 s46, s46, exec_lo
	s_mov_b32 vcc_lo, -1
	s_or_b32 s43, s43, s46
	s_and_saveexec_b32 s46, s45
	s_cbranch_execz .LBB6_1022
; %bb.1025:                             ;   in Loop: Header=BB6_1023 Depth=4
	s_sleep 1
	s_cbranch_execnz .LBB6_1882
; %bb.1026:                             ;   in Loop: Header=BB6_1023 Depth=4
	ds_load_b64 v[8:9], v0
	s_and_not1_b32 s43, s43, exec_lo
	s_waitcnt lgkmcnt(0)
	v_cmp_ge_u64_e32 vcc_lo, v[8:9], v[48:49]
	s_or_not1_b32 vcc_lo, vcc_lo, exec_lo
	s_branch .LBB6_1022
.LBB6_1027:                             ;   in Loop: Header=BB6_1023 Depth=4
	s_cbranch_execnz .LBB6_1890
; %bb.1028:                             ;   in Loop: Header=BB6_1023 Depth=4
	ds_load_b64 v[8:9], v0
	s_and_not1_b32 s45, s45, exec_lo
	s_mov_b32 s44, 0
	s_mov_b32 s46, -1
	s_waitcnt lgkmcnt(0)
	flat_load_b32 v2, v[8:9] glc
	s_waitcnt vmcnt(0) lgkmcnt(0)
	buffer_gl1_inv
	buffer_gl0_inv
	v_cmp_eq_u32_e32 vcc_lo, 0, v2
	s_and_b32 vcc_lo, vcc_lo, exec_lo
	s_delay_alu instid0(SALU_CYCLE_1)
	s_or_b32 s45, s45, vcc_lo
	s_branch .LBB6_1024
.LBB6_1029:                             ;   in Loop: Header=BB6_863 Depth=3
	s_or_b32 exec_lo, exec_lo, s17
	s_and_saveexec_b32 s17, s42
	s_delay_alu instid0(SALU_CYCLE_1)
	s_xor_b32 s17, exec_lo, s17
	s_cbranch_execz .LBB6_1031
; %bb.1030:                             ;   in Loop: Header=BB6_863 Depth=3
	ds_store_b32 v0, v144
	s_cbranch_execnz .LBB6_1936
.LBB6_1031:                             ;   in Loop: Header=BB6_863 Depth=3
	s_or_b32 exec_lo, exec_lo, s16
	;;#ASMSTART
	s_wakeup
	;;#ASMEND
.LBB6_1032:                             ;   in Loop: Header=BB6_863 Depth=3
	s_or_b32 exec_lo, exec_lo, s15
.LBB6_1033:                             ;   in Loop: Header=BB6_863 Depth=3
	s_and_not1_saveexec_b32 s14, s14
	s_cbranch_execz .LBB6_1035
; %bb.1034:                             ;   in Loop: Header=BB6_863 Depth=3
	s_waitcnt lgkmcnt(0)
	s_waitcnt_vscnt null, 0x0
	buffer_gl1_inv
	buffer_gl0_inv
	s_barrier
.LBB6_1035:                             ;   in Loop: Header=BB6_863 Depth=3
	s_or_b32 exec_lo, exec_lo, s14
.LBB6_1036:                             ;   in Loop: Header=BB6_863 Depth=3
	s_delay_alu instid0(SALU_CYCLE_1) | instskip(SKIP_1) | instid1(SALU_CYCLE_1)
	s_or_b32 exec_lo, exec_lo, s13
                                        ; implicit-def: $vgpr2
	s_and_saveexec_b32 s13, s7
	s_xor_b32 s14, exec_lo, s13
	s_cbranch_execz .LBB6_1040
; %bb.1037:                             ;   in Loop: Header=BB6_863 Depth=3
	v_and_b32_e32 v2, 16, v30
	v_cmp_lt_i32_e32 vcc_lo, 0, v19
	s_delay_alu instid0(VALU_DEP_2) | instskip(SKIP_1) | instid1(VALU_DEP_2)
	v_cmp_ne_u32_e64 s13, 0, v2
	v_and_b32_e32 v2, 16, v30
	s_and_b32 s15, s13, vcc_lo
	s_delay_alu instid0(SALU_CYCLE_1)
	s_and_saveexec_b32 s13, s15
	s_cbranch_execz .LBB6_1039
; %bb.1038:                             ;   in Loop: Header=BB6_863 Depth=3
	v_mov_b32_e32 v2, 1
	s_waitcnt lgkmcnt(0)
	s_waitcnt_vscnt null, 0x0
	buffer_gl1_inv
	buffer_gl0_inv
.LBB6_1039:                             ;   in Loop: Header=BB6_863 Depth=3
	s_or_b32 exec_lo, exec_lo, s13
.LBB6_1040:                             ;   in Loop: Header=BB6_863 Depth=3
	s_and_not1_saveexec_b32 s13, s14
	s_cbranch_execz .LBB6_1062
; %bb.1041:                             ;   in Loop: Header=BB6_863 Depth=3
	s_and_saveexec_b32 s14, s4
	s_delay_alu instid0(SALU_CYCLE_1)
	s_xor_b32 s14, exec_lo, s14
	s_cbranch_execz .LBB6_1059
; %bb.1042:                             ;   in Loop: Header=BB6_863 Depth=3
	s_and_saveexec_b32 s15, s1
	s_cbranch_execz .LBB6_1058
; %bb.1043:                             ;   in Loop: Header=BB6_863 Depth=3
	s_mov_b32 s17, exec_lo
	s_mov_b32 s16, exec_lo
	v_mbcnt_lo_u32_b32 v2, s17, 0
	;;#ASMSTART
	s_waitcnt lgkmcnt(0) vmcnt(0)
	;;#ASMEND
	s_delay_alu instid0(VALU_DEP_1)
	v_cmpx_eq_u32_e32 0, v2
	s_cbranch_execz .LBB6_1045
; %bb.1044:                             ;   in Loop: Header=BB6_863 Depth=3
	s_bcnt1_i32_b32 s17, s17
	s_delay_alu instid0(SALU_CYCLE_1)
	v_mov_b32_e32 v2, s17
	ds_add_u64 v0, v[2:3]
	s_cbranch_execnz .LBB6_1852
.LBB6_1045:                             ;   in Loop: Header=BB6_863 Depth=3
	s_or_b32 exec_lo, exec_lo, s16
	s_cbranch_execnz .LBB6_1832
; %bb.1046:                             ;   in Loop: Header=BB6_863 Depth=3
	ds_load_b64 v[8:9], v0
	v_add_co_u32 v48, vcc_lo, v48, v97
	v_add_co_ci_u32_e32 v49, vcc_lo, 0, v49, vcc_lo
	s_mov_b32 s16, exec_lo
	s_waitcnt lgkmcnt(0)
	s_delay_alu instid0(VALU_DEP_1)
	v_cmpx_lt_u64_e64 v[8:9], v[48:49]
	s_cbranch_execz .LBB6_1057
; %bb.1047:                             ;   in Loop: Header=BB6_863 Depth=3
	s_mov_b32 s17, 0
	s_mov_b32 s44, 0
                                        ; implicit-def: $sgpr42
                                        ; implicit-def: $sgpr43
	s_branch .LBB6_1049
.LBB6_1048:                             ;   in Loop: Header=BB6_1049 Depth=4
	s_or_b32 exec_lo, exec_lo, s46
	s_delay_alu instid0(SALU_CYCLE_1) | instskip(NEXT) | instid1(SALU_CYCLE_1)
	s_and_b32 vcc_lo, exec_lo, vcc_lo
	s_or_b32 s17, vcc_lo, s17
	s_and_not1_b32 vcc_lo, s42, exec_lo
	s_and_b32 s42, s43, exec_lo
	s_delay_alu instid0(SALU_CYCLE_1)
	s_or_b32 s42, vcc_lo, s42
	s_and_not1_b32 exec_lo, exec_lo, s17
	s_cbranch_execz .LBB6_1055
.LBB6_1049:                             ;   Parent Loop BB6_51 Depth=1
                                        ;     Parent Loop BB6_861 Depth=2
                                        ;       Parent Loop BB6_863 Depth=3
                                        ; =>      This Inner Loop Header: Depth=4
	s_add_i32 s44, s44, 1
                                        ; implicit-def: $sgpr46
	s_delay_alu instid0(SALU_CYCLE_1) | instskip(SKIP_1) | instid1(SALU_CYCLE_1)
	s_cmpk_lg_i32 s44, 0x2710
	s_cselect_b32 s45, -1, 0
	s_and_b32 vcc_lo, exec_lo, s45
	s_cbranch_vccnz .LBB6_1052
; %bb.1050:                             ;   in Loop: Header=BB6_1049 Depth=4
	s_cbranch_execnz .LBB6_1894
; %bb.1051:                             ;   in Loop: Header=BB6_1049 Depth=4
	ds_load_b64 v[8:9], v0
	s_and_not1_b32 s45, s45, exec_lo
	s_mov_b32 s44, 0
	s_mov_b32 s46, -1
	s_waitcnt lgkmcnt(0)
	s_waitcnt_vscnt null, 0x0
	flat_load_b32 v2, v[8:9] glc
	s_waitcnt vmcnt(0) lgkmcnt(0)
	buffer_gl1_inv
	buffer_gl0_inv
	v_cmp_eq_u32_e32 vcc_lo, 0, v2
	s_and_b32 vcc_lo, vcc_lo, exec_lo
	s_delay_alu instid0(SALU_CYCLE_1)
	s_or_b32 s45, s45, vcc_lo
.LBB6_1052:                             ;   in Loop: Header=BB6_1049 Depth=4
	s_and_not1_b32 s43, s43, exec_lo
	s_and_b32 s46, s46, exec_lo
	s_mov_b32 vcc_lo, -1
	s_or_b32 s43, s43, s46
	s_and_saveexec_b32 s46, s45
	s_cbranch_execz .LBB6_1048
; %bb.1053:                             ;   in Loop: Header=BB6_1049 Depth=4
	s_sleep 1
	s_cbranch_execnz .LBB6_1888
; %bb.1054:                             ;   in Loop: Header=BB6_1049 Depth=4
	ds_load_b64 v[8:9], v0
	s_and_not1_b32 s43, s43, exec_lo
	s_waitcnt lgkmcnt(0)
	v_cmp_ge_u64_e32 vcc_lo, v[8:9], v[48:49]
	s_or_not1_b32 vcc_lo, vcc_lo, exec_lo
	s_branch .LBB6_1048
.LBB6_1055:                             ;   in Loop: Header=BB6_863 Depth=3
	s_or_b32 exec_lo, exec_lo, s17
	s_and_saveexec_b32 s17, s42
	s_delay_alu instid0(SALU_CYCLE_1)
	s_xor_b32 s17, exec_lo, s17
	s_cbranch_execz .LBB6_1057
; %bb.1056:                             ;   in Loop: Header=BB6_863 Depth=3
	ds_store_b32 v0, v144
	s_cbranch_execnz .LBB6_1938
.LBB6_1057:                             ;   in Loop: Header=BB6_863 Depth=3
	s_or_b32 exec_lo, exec_lo, s16
	;;#ASMSTART
	s_wakeup
	;;#ASMEND
.LBB6_1058:                             ;   in Loop: Header=BB6_863 Depth=3
	s_or_b32 exec_lo, exec_lo, s15
.LBB6_1059:                             ;   in Loop: Header=BB6_863 Depth=3
	s_and_not1_saveexec_b32 s14, s14
	s_cbranch_execz .LBB6_1061
; %bb.1060:                             ;   in Loop: Header=BB6_863 Depth=3
	;;#ASMSTART
	s_waitcnt lgkmcnt(0) vmcnt(0)
	;;#ASMEND
	s_waitcnt lgkmcnt(0)
	s_waitcnt_vscnt null, 0x0
	s_barrier
.LBB6_1061:                             ;   in Loop: Header=BB6_863 Depth=3
	s_or_b32 exec_lo, exec_lo, s14
	v_and_b32_e32 v2, 16, v30
.LBB6_1062:                             ;   in Loop: Header=BB6_863 Depth=3
	s_or_b32 exec_lo, exec_lo, s13
	s_delay_alu instid0(VALU_DEP_1) | instskip(SKIP_1) | instid1(SALU_CYCLE_1)
	v_cmp_ne_u32_e32 vcc_lo, 0, v2
	s_xor_b32 s13, s10, -1
	s_and_b32 s14, vcc_lo, s13
	s_delay_alu instid0(SALU_CYCLE_1)
	s_and_saveexec_b32 s13, s14
	s_cbranch_execz .LBB6_1064
; %bb.1063:                             ;   in Loop: Header=BB6_863 Depth=3
	s_waitcnt lgkmcnt(0)
	s_waitcnt_vscnt null, 0x0
	flat_store_b32 v[38:39], v144
.LBB6_1064:                             ;   in Loop: Header=BB6_863 Depth=3
	s_or_b32 exec_lo, exec_lo, s13
	v_and_b32_e32 v2, 48, v30
	s_mov_b32 s13, exec_lo
	s_delay_alu instid0(VALU_DEP_1)
	v_cmpx_ne_u32_e32 0, v2
	s_cbranch_execz .LBB6_1066
; %bb.1065:                             ;   in Loop: Header=BB6_863 Depth=3
	v_add_co_u32 v34, vcc_lo, v34, 2
	v_add_co_ci_u32_e32 v35, vcc_lo, 0, v35, vcc_lo
	s_waitcnt lgkmcnt(0)
	s_waitcnt_vscnt null, 0x0
	flat_store_b64 v[32:33], v[34:35]
.LBB6_1066:                             ;   in Loop: Header=BB6_863 Depth=3
	s_or_b32 exec_lo, exec_lo, s13
	v_add_nc_u32_e32 v16, v12, v16
	s_xor_b32 s13, s40, -1
	v_mov_b32_e32 v2, s41
	s_mov_b32 s40, 0
	s_mov_b32 s41, 2
	v_cmp_ge_i32_e32 vcc_lo, v16, v15
	s_or_b32 s13, s13, vcc_lo
	s_delay_alu instid0(SALU_CYCLE_1) | instskip(NEXT) | instid1(SALU_CYCLE_1)
	s_and_b32 s13, exec_lo, s13
	s_or_b32 s39, s13, s39
	s_delay_alu instid0(SALU_CYCLE_1)
	s_and_not1_b32 exec_lo, exec_lo, s39
	s_cbranch_execnz .LBB6_863
; %bb.1067:                             ;   in Loop: Header=BB6_861 Depth=2
	s_or_b32 exec_lo, exec_lo, s39
.LBB6_1068:                             ;   in Loop: Header=BB6_861 Depth=2
	s_delay_alu instid0(SALU_CYCLE_1) | instskip(NEXT) | instid1(SALU_CYCLE_1)
	s_or_b32 exec_lo, exec_lo, s38
	s_mov_b32 s14, exec_lo
	v_cmpx_gt_i32_e32 2, v2
	s_cbranch_execz .LBB6_1152
; %bb.1069:                             ;   in Loop: Header=BB6_861 Depth=2
	v_cmp_eq_u32_e64 s13, 0, v2
	s_mov_b32 s15, 0
.LBB6_1070:                             ;   Parent Loop BB6_51 Depth=1
                                        ;     Parent Loop BB6_861 Depth=2
                                        ; =>    This Loop Header: Depth=3
                                        ;         Child Loop BB6_1076 Depth 4
                                        ;         Child Loop BB6_1106 Depth 4
	;; [unrolled: 1-line block ×3, first 2 shown]
	v_and_b32_e32 v2, 12, v30
	s_mov_b32 s17, -1
	s_mov_b32 s16, exec_lo
	s_delay_alu instid0(VALU_DEP_1)
	v_cmpx_ne_u32_e32 0, v2
	s_cbranch_execz .LBB6_1084
; %bb.1071:                             ;   in Loop: Header=BB6_1070 Depth=3
	v_and_b32_e32 v2, 8, v30
	s_delay_alu instid0(VALU_DEP_1) | instskip(SKIP_3) | instid1(VALU_DEP_1)
	v_add_co_u32 v10, vcc_lo, v50, v2
	v_add_co_ci_u32_e32 v11, vcc_lo, 0, v51, vcc_lo
	v_add_co_u32 v8, vcc_lo, v34, 2
	v_add_co_ci_u32_e32 v9, vcc_lo, 0, v35, vcc_lo
	v_cmp_lt_u64_e32 vcc_lo, v[10:11], v[8:9]
	v_mov_b32_e32 v10, 1
	s_and_saveexec_b32 s17, vcc_lo
	s_cbranch_execz .LBB6_1083
; %bb.1072:                             ;   in Loop: Header=BB6_1070 Depth=3
	v_mov_b32_e32 v10, 0
	s_mov_b32 s38, 0
                                        ; implicit-def: $sgpr39
	s_branch .LBB6_1076
.LBB6_1073:                             ;   in Loop: Header=BB6_1076 Depth=4
	s_or_b32 exec_lo, exec_lo, s43
	v_mov_b32_e32 v11, 0
	s_or_not1_b32 s42, s42, exec_lo
.LBB6_1074:                             ;   in Loop: Header=BB6_1076 Depth=4
	s_or_b32 exec_lo, exec_lo, s41
	s_delay_alu instid0(VALU_DEP_1) | instskip(SKIP_2) | instid1(SALU_CYCLE_1)
	v_mov_b32_e32 v10, v11
	s_and_not1_b32 vcc_lo, s39, exec_lo
	s_and_b32 s39, s42, exec_lo
	s_or_b32 s39, vcc_lo, s39
.LBB6_1075:                             ;   in Loop: Header=BB6_1076 Depth=4
	s_or_b32 exec_lo, exec_lo, s40
	s_waitcnt vmcnt(0) lgkmcnt(0)
	v_add_co_u32 v13, vcc_lo, v50, v2
	v_add_co_ci_u32_e32 v14, vcc_lo, 0, v51, vcc_lo
	s_xor_b32 s40, s39, -1
	s_delay_alu instid0(VALU_DEP_1) | instskip(SKIP_1) | instid1(SALU_CYCLE_1)
	v_cmp_ge_u64_e32 vcc_lo, v[13:14], v[8:9]
	s_or_b32 vcc_lo, s40, vcc_lo
	s_and_b32 vcc_lo, exec_lo, vcc_lo
	s_delay_alu instid0(SALU_CYCLE_1) | instskip(NEXT) | instid1(SALU_CYCLE_1)
	s_or_b32 s38, vcc_lo, s38
	s_and_not1_b32 exec_lo, exec_lo, s38
	s_cbranch_execz .LBB6_1082
.LBB6_1076:                             ;   Parent Loop BB6_51 Depth=1
                                        ;     Parent Loop BB6_861 Depth=2
                                        ;       Parent Loop BB6_1070 Depth=3
                                        ; =>      This Inner Loop Header: Depth=4
	s_sleep 1
	flat_load_b64 v[50:51], v[32:33] glc
	v_and_b32_e32 v11, 64, v30
	s_and_not1_b32 s39, s39, exec_lo
	s_mov_b32 s40, exec_lo
	s_delay_alu instid0(VALU_DEP_1)
	v_cmpx_eq_u32_e32 0, v11
	s_cbranch_execz .LBB6_1075
; %bb.1077:                             ;   in Loop: Header=BB6_1076 Depth=4
	v_add_nc_u32_e32 v11, 1, v10
	s_mov_b32 s42, -1
	s_mov_b32 s41, exec_lo
	v_cmpx_lt_i32_e32 0x270e, v10
	s_cbranch_execz .LBB6_1074
; %bb.1078:                             ;   in Loop: Header=BB6_1076 Depth=4
	s_cbranch_execnz .LBB6_1596
; %bb.1079:                             ;   in Loop: Header=BB6_1076 Depth=4
	ds_load_b64 v[10:11], v0
	s_mov_b32 s43, exec_lo
	s_waitcnt vmcnt(0) lgkmcnt(0)
	s_waitcnt_vscnt null, 0x0
	flat_load_b32 v10, v[10:11] glc
	s_waitcnt vmcnt(0) lgkmcnt(0)
	buffer_gl1_inv
	buffer_gl0_inv
	v_cmpx_ne_u32_e32 0, v10
	s_cbranch_execz .LBB6_1073
; %bb.1080:                             ;   in Loop: Header=BB6_1076 Depth=4
	ds_store_b32 v0, v10
	s_cbranch_execnz .LBB6_1680
; %bb.1081:                             ;   in Loop: Header=BB6_1076 Depth=4
	v_or_b32_e32 v30, 64, v30
	s_xor_b32 s42, exec_lo, -1
	s_branch .LBB6_1073
.LBB6_1082:                             ;   in Loop: Header=BB6_1070 Depth=3
	s_or_b32 exec_lo, exec_lo, s38
	v_and_b32_e32 v10, 12, v30
.LBB6_1083:                             ;   in Loop: Header=BB6_1070 Depth=3
	s_or_b32 exec_lo, exec_lo, s17
	s_delay_alu instid0(VALU_DEP_1)
	v_cmp_eq_u32_e32 vcc_lo, 0, v10
	;;#ASMSTART
	s_wakeup
	;;#ASMEND
	s_or_not1_b32 s17, vcc_lo, exec_lo
.LBB6_1084:                             ;   in Loop: Header=BB6_1070 Depth=3
	s_or_b32 exec_lo, exec_lo, s16
	v_sub_nc_u32_e32 v2, v15, v16
	s_xor_b32 s13, s13, -1
	s_delay_alu instid0(SALU_CYCLE_1) | instskip(NEXT) | instid1(SALU_CYCLE_1)
	s_and_b32 s13, exec_lo, s13
	s_or_b32 s15, s13, s15
	s_delay_alu instid0(VALU_DEP_1) | instskip(SKIP_1) | instid1(SALU_CYCLE_1)
	v_min_i32_e32 v12, v12, v2
	s_xor_b32 s13, s17, -1
	s_and_saveexec_b32 s16, s13
	s_cbranch_execz .LBB6_1097
; %bb.1085:                             ;   in Loop: Header=BB6_1070 Depth=3
	v_and_b32_e32 v2, 0x108, v30
	s_delay_alu instid0(VALU_DEP_1) | instskip(SKIP_2) | instid1(SALU_CYCLE_1)
	v_cmp_ne_u32_e32 vcc_lo, 0x108, v2
	v_and_b32_e32 v2, 7, v34
	s_and_saveexec_b32 s13, vcc_lo
	s_xor_b32 s13, exec_lo, s13
	s_delay_alu instid0(SALU_CYCLE_1)
	s_and_not1_saveexec_b32 s13, s13
	s_cbranch_execz .LBB6_1087
; %bb.1086:                             ;   in Loop: Header=BB6_1070 Depth=3
	v_mad_u64_u32 v[8:9], null, v2, 24, v[6:7]
	v_ashrrev_i32_e32 v13, 31, v12
	flat_store_b64 v[8:9], v[12:13] offset:8
.LBB6_1087:                             ;   in Loop: Header=BB6_1070 Depth=3
	s_or_b32 exec_lo, exec_lo, s13
	v_and_b32_e32 v8, 0x100, v30
	s_mov_b32 s13, -1
	s_delay_alu instid0(VALU_DEP_1)
	v_cmp_ne_u32_e32 vcc_lo, 0, v8
                                        ; implicit-def: $vgpr8_vgpr9
	s_and_saveexec_b32 s17, vcc_lo
	s_cbranch_execnz .LBB6_1090
; %bb.1088:                             ;   in Loop: Header=BB6_1070 Depth=3
	s_or_b32 exec_lo, exec_lo, s17
	s_and_saveexec_b32 s17, s13
	s_cbranch_execnz .LBB6_1093
.LBB6_1089:                             ;   in Loop: Header=BB6_1070 Depth=3
	s_or_b32 exec_lo, exec_lo, s17
	s_cbranch_execnz .LBB6_1586
	s_branch .LBB6_1094
.LBB6_1090:                             ;   in Loop: Header=BB6_1070 Depth=3
	v_mad_u64_u32 v[10:11], null, v2, 24, v[6:7]
	s_delay_alu instid0(VALU_DEP_1) | instskip(NEXT) | instid1(VALU_DEP_1)
	v_mov_b32_e32 v8, v11
	v_mad_u64_u32 v[13:14], null, v3, 24, v[8:9]
	s_delay_alu instid0(VALU_DEP_1) | instskip(SKIP_4) | instid1(VALU_DEP_1)
	v_mov_b32_e32 v11, v13
	flat_load_b32 v8, v[10:11]
	s_waitcnt vmcnt(0) lgkmcnt(0)
	v_cmp_ne_u32_e32 vcc_lo, 1, v8
	v_cmp_eq_u32_e64 s13, 1, v8
                                        ; implicit-def: $vgpr8_vgpr9
	s_and_saveexec_b32 s38, s13
	s_cbranch_execz .LBB6_1092
; %bb.1091:                             ;   in Loop: Header=BB6_1070 Depth=3
	flat_load_b32 v8, v[10:11] offset:4 glc
	s_waitcnt vmcnt(0) lgkmcnt(0)
	v_ashrrev_i32_e32 v9, 31, v8
.LBB6_1092:                             ;   in Loop: Header=BB6_1070 Depth=3
	s_or_b32 exec_lo, exec_lo, s38
	s_delay_alu instid0(SALU_CYCLE_1)
	s_or_not1_b32 s13, vcc_lo, exec_lo
	s_or_b32 exec_lo, exec_lo, s17
	s_and_saveexec_b32 s17, s13
	s_cbranch_execz .LBB6_1089
.LBB6_1093:                             ;   in Loop: Header=BB6_1070 Depth=3
	v_mul_lo_u32 v10, v3, v86
	v_mul_lo_u32 v11, v2, v96
	v_mad_u64_u32 v[8:9], null, v2, v86, 0
	s_delay_alu instid0(VALU_DEP_1)
	v_add3_u32 v9, v9, v11, v10
	s_or_b32 exec_lo, exec_lo, s17
	s_cbranch_execnz .LBB6_1586
.LBB6_1094:                             ;   in Loop: Header=BB6_1070 Depth=3
	s_delay_alu instid0(VALU_DEP_2)
	v_add_co_u32 v8, vcc_lo, v36, v8
	v_and_b32_e32 v2, 0x2000, v30
	v_add_co_ci_u32_e32 v9, vcc_lo, v37, v9, vcc_lo
	s_mov_b32 s13, exec_lo
	ds_store_b64 v0, v[8:9]
	v_cmpx_ne_u32_e32 0, v2
	s_cbranch_execz .LBB6_1096
; %bb.1095:                             ;   in Loop: Header=BB6_1070 Depth=3
	ds_load_b64 v[8:9], v0 offset:584
	s_waitcnt lgkmcnt(0)
	v_add_co_u32 v8, vcc_lo, v8, 1
	v_add_co_ci_u32_e32 v9, vcc_lo, 0, v9, vcc_lo
	ds_store_b64 v0, v[8:9] offset:584
.LBB6_1096:                             ;   in Loop: Header=BB6_1070 Depth=3
	s_or_b32 exec_lo, exec_lo, s13
	v_add_co_u32 v34, vcc_lo, v34, 2
	v_add_co_ci_u32_e32 v35, vcc_lo, 0, v35, vcc_lo
.LBB6_1097:                             ;   in Loop: Header=BB6_1070 Depth=3
	s_or_b32 exec_lo, exec_lo, s16
	s_and_saveexec_b32 s13, s3
	s_cbranch_execz .LBB6_1119
; %bb.1098:                             ;   in Loop: Header=BB6_1070 Depth=3
	s_and_saveexec_b32 s16, s4
	s_delay_alu instid0(SALU_CYCLE_1)
	s_xor_b32 s16, exec_lo, s16
	s_cbranch_execz .LBB6_1116
; %bb.1099:                             ;   in Loop: Header=BB6_1070 Depth=3
	s_and_saveexec_b32 s17, s1
	s_cbranch_execz .LBB6_1115
; %bb.1100:                             ;   in Loop: Header=BB6_1070 Depth=3
	s_mov_b32 s39, exec_lo
	s_mov_b32 s38, exec_lo
	v_mbcnt_lo_u32_b32 v2, s39, 0
	s_waitcnt lgkmcnt(0)
	s_waitcnt_vscnt null, 0x0
	buffer_gl1_inv
	buffer_gl0_inv
	v_cmpx_eq_u32_e32 0, v2
	s_cbranch_execz .LBB6_1102
; %bb.1101:                             ;   in Loop: Header=BB6_1070 Depth=3
	s_bcnt1_i32_b32 vcc_lo, s39
	s_delay_alu instid0(SALU_CYCLE_1)
	v_mov_b32_e32 v2, vcc_lo
	ds_add_u64 v0, v[2:3]
	s_cbranch_execnz .LBB6_1736
.LBB6_1102:                             ;   in Loop: Header=BB6_1070 Depth=3
	s_or_b32 exec_lo, exec_lo, s38
	s_cbranch_execnz .LBB6_1706
; %bb.1103:                             ;   in Loop: Header=BB6_1070 Depth=3
	ds_load_b64 v[8:9], v0
	v_add_co_u32 v48, vcc_lo, v48, v97
	v_add_co_ci_u32_e32 v49, vcc_lo, 0, v49, vcc_lo
	s_mov_b32 s38, exec_lo
	s_waitcnt lgkmcnt(0)
	s_delay_alu instid0(VALU_DEP_1)
	v_cmpx_lt_u64_e64 v[8:9], v[48:49]
	s_cbranch_execz .LBB6_1114
; %bb.1104:                             ;   in Loop: Header=BB6_1070 Depth=3
	s_mov_b32 s39, 0
	s_mov_b32 s42, 0
                                        ; implicit-def: $sgpr40
                                        ; implicit-def: $sgpr41
	s_branch .LBB6_1106
.LBB6_1105:                             ;   in Loop: Header=BB6_1106 Depth=4
	s_or_b32 exec_lo, exec_lo, s44
	s_delay_alu instid0(SALU_CYCLE_1) | instskip(NEXT) | instid1(SALU_CYCLE_1)
	s_and_b32 vcc_lo, exec_lo, vcc_lo
	s_or_b32 s39, vcc_lo, s39
	s_and_not1_b32 vcc_lo, s40, exec_lo
	s_and_b32 s40, s41, exec_lo
	s_delay_alu instid0(SALU_CYCLE_1)
	s_or_b32 s40, vcc_lo, s40
	s_and_not1_b32 exec_lo, exec_lo, s39
	s_cbranch_execz .LBB6_1112
.LBB6_1106:                             ;   Parent Loop BB6_51 Depth=1
                                        ;     Parent Loop BB6_861 Depth=2
                                        ;       Parent Loop BB6_1070 Depth=3
                                        ; =>      This Inner Loop Header: Depth=4
	s_add_i32 s42, s42, 1
                                        ; implicit-def: $sgpr44
	s_delay_alu instid0(SALU_CYCLE_1) | instskip(SKIP_1) | instid1(SALU_CYCLE_1)
	s_cmpk_lg_i32 s42, 0x2710
	s_cselect_b32 s43, -1, 0
	s_and_b32 vcc_lo, exec_lo, s43
	s_cbranch_vccz .LBB6_1110
.LBB6_1107:                             ;   in Loop: Header=BB6_1106 Depth=4
	s_and_not1_b32 s41, s41, exec_lo
	s_and_b32 s44, s44, exec_lo
	s_mov_b32 vcc_lo, -1
	s_or_b32 s41, s41, s44
	s_and_saveexec_b32 s44, s43
	s_cbranch_execz .LBB6_1105
; %bb.1108:                             ;   in Loop: Header=BB6_1106 Depth=4
	s_sleep 1
	s_cbranch_execnz .LBB6_1788
; %bb.1109:                             ;   in Loop: Header=BB6_1106 Depth=4
	ds_load_b64 v[8:9], v0
	s_and_not1_b32 s41, s41, exec_lo
	s_waitcnt lgkmcnt(0)
	v_cmp_ge_u64_e32 vcc_lo, v[8:9], v[48:49]
	s_or_not1_b32 vcc_lo, vcc_lo, exec_lo
	s_branch .LBB6_1105
.LBB6_1110:                             ;   in Loop: Header=BB6_1106 Depth=4
	s_cbranch_execnz .LBB6_1804
; %bb.1111:                             ;   in Loop: Header=BB6_1106 Depth=4
	ds_load_b64 v[8:9], v0
	s_and_not1_b32 s43, s43, exec_lo
	s_mov_b32 s42, 0
	s_mov_b32 s44, -1
	s_waitcnt lgkmcnt(0)
	flat_load_b32 v2, v[8:9] glc
	s_waitcnt vmcnt(0) lgkmcnt(0)
	buffer_gl1_inv
	buffer_gl0_inv
	v_cmp_eq_u32_e32 vcc_lo, 0, v2
	s_and_b32 vcc_lo, vcc_lo, exec_lo
	s_delay_alu instid0(SALU_CYCLE_1)
	s_or_b32 s43, s43, vcc_lo
	s_branch .LBB6_1107
.LBB6_1112:                             ;   in Loop: Header=BB6_1070 Depth=3
	s_or_b32 exec_lo, exec_lo, s39
	s_and_saveexec_b32 vcc_lo, s40
	s_delay_alu instid0(SALU_CYCLE_1)
	s_xor_b32 vcc_lo, exec_lo, vcc_lo
	s_cbranch_execz .LBB6_1114
; %bb.1113:                             ;   in Loop: Header=BB6_1070 Depth=3
	ds_store_b32 v0, v144
	s_cbranch_execnz .LBB6_1918
.LBB6_1114:                             ;   in Loop: Header=BB6_1070 Depth=3
	s_or_b32 exec_lo, exec_lo, s38
	;;#ASMSTART
	s_wakeup
	;;#ASMEND
.LBB6_1115:                             ;   in Loop: Header=BB6_1070 Depth=3
	s_or_b32 exec_lo, exec_lo, s17
.LBB6_1116:                             ;   in Loop: Header=BB6_1070 Depth=3
	s_and_not1_saveexec_b32 s16, s16
	s_cbranch_execz .LBB6_1118
; %bb.1117:                             ;   in Loop: Header=BB6_1070 Depth=3
	s_waitcnt lgkmcnt(0)
	s_waitcnt_vscnt null, 0x0
	buffer_gl1_inv
	buffer_gl0_inv
	s_barrier
.LBB6_1118:                             ;   in Loop: Header=BB6_1070 Depth=3
	s_or_b32 exec_lo, exec_lo, s16
.LBB6_1119:                             ;   in Loop: Header=BB6_1070 Depth=3
	s_delay_alu instid0(SALU_CYCLE_1) | instskip(SKIP_1) | instid1(SALU_CYCLE_1)
	s_or_b32 exec_lo, exec_lo, s13
                                        ; implicit-def: $vgpr2
	s_and_saveexec_b32 s13, s7
	s_xor_b32 s16, exec_lo, s13
	s_cbranch_execz .LBB6_1124
; %bb.1120:                             ;   in Loop: Header=BB6_1070 Depth=3
	s_cbranch_execnz .LBB6_1618
; %bb.1121:                             ;   in Loop: Header=BB6_1070 Depth=3
	ds_load_b32 v2, v0
	v_cmp_lt_i32_e32 vcc_lo, 0, v12
	s_waitcnt lgkmcnt(0)
	v_readfirstlane_b32 s13, v2
	v_and_b32_e32 v2, 16, v30
	s_delay_alu instid0(VALU_DEP_2) | instskip(NEXT) | instid1(VALU_DEP_1)
	s_cmp_eq_u32 s13, 0
	v_cmp_ne_u32_e64 s13, 0, v2
	s_cselect_b32 s17, -1, 0
	v_and_b32_e32 v2, 16, v30
	s_and_b32 s17, vcc_lo, s17
	s_delay_alu instid0(VALU_DEP_2) | instid1(SALU_CYCLE_1)
	s_and_b32 s17, s13, s17
	s_delay_alu instid0(SALU_CYCLE_1)
	s_and_saveexec_b32 s13, s17
	s_cbranch_execz .LBB6_1123
; %bb.1122:                             ;   in Loop: Header=BB6_1070 Depth=3
	v_mov_b32_e32 v2, 1
	s_waitcnt_vscnt null, 0x0
	buffer_gl1_inv
	buffer_gl0_inv
.LBB6_1123:                             ;   in Loop: Header=BB6_1070 Depth=3
	s_or_b32 exec_lo, exec_lo, s13
.LBB6_1124:                             ;   in Loop: Header=BB6_1070 Depth=3
	s_and_not1_saveexec_b32 s13, s16
	s_cbranch_execz .LBB6_1146
; %bb.1125:                             ;   in Loop: Header=BB6_1070 Depth=3
	s_and_saveexec_b32 s16, s4
	s_delay_alu instid0(SALU_CYCLE_1)
	s_xor_b32 s16, exec_lo, s16
	s_cbranch_execz .LBB6_1143
; %bb.1126:                             ;   in Loop: Header=BB6_1070 Depth=3
	s_and_saveexec_b32 s17, s1
	s_cbranch_execz .LBB6_1142
; %bb.1127:                             ;   in Loop: Header=BB6_1070 Depth=3
	s_mov_b32 s39, exec_lo
	s_mov_b32 s38, exec_lo
	v_mbcnt_lo_u32_b32 v2, s39, 0
	;;#ASMSTART
	s_waitcnt lgkmcnt(0) vmcnt(0)
	;;#ASMEND
	s_delay_alu instid0(VALU_DEP_1)
	v_cmpx_eq_u32_e32 0, v2
	s_cbranch_execz .LBB6_1129
; %bb.1128:                             ;   in Loop: Header=BB6_1070 Depth=3
	s_bcnt1_i32_b32 vcc_lo, s39
	s_delay_alu instid0(SALU_CYCLE_1)
	v_mov_b32_e32 v2, vcc_lo
	ds_add_u64 v0, v[2:3]
	s_cbranch_execnz .LBB6_1758
.LBB6_1129:                             ;   in Loop: Header=BB6_1070 Depth=3
	s_or_b32 exec_lo, exec_lo, s38
	s_cbranch_execnz .LBB6_1734
; %bb.1130:                             ;   in Loop: Header=BB6_1070 Depth=3
	ds_load_b64 v[8:9], v0
	v_add_co_u32 v48, vcc_lo, v48, v97
	v_add_co_ci_u32_e32 v49, vcc_lo, 0, v49, vcc_lo
	s_mov_b32 s38, exec_lo
	s_waitcnt lgkmcnt(0)
	s_delay_alu instid0(VALU_DEP_1)
	v_cmpx_lt_u64_e64 v[8:9], v[48:49]
	s_cbranch_execz .LBB6_1141
; %bb.1131:                             ;   in Loop: Header=BB6_1070 Depth=3
	s_mov_b32 s39, 0
	s_mov_b32 s42, 0
                                        ; implicit-def: $sgpr40
                                        ; implicit-def: $sgpr41
	s_branch .LBB6_1133
.LBB6_1132:                             ;   in Loop: Header=BB6_1133 Depth=4
	s_or_b32 exec_lo, exec_lo, s44
	s_delay_alu instid0(SALU_CYCLE_1) | instskip(NEXT) | instid1(SALU_CYCLE_1)
	s_and_b32 vcc_lo, exec_lo, vcc_lo
	s_or_b32 s39, vcc_lo, s39
	s_and_not1_b32 vcc_lo, s40, exec_lo
	s_and_b32 s40, s41, exec_lo
	s_delay_alu instid0(SALU_CYCLE_1)
	s_or_b32 s40, vcc_lo, s40
	s_and_not1_b32 exec_lo, exec_lo, s39
	s_cbranch_execz .LBB6_1139
.LBB6_1133:                             ;   Parent Loop BB6_51 Depth=1
                                        ;     Parent Loop BB6_861 Depth=2
                                        ;       Parent Loop BB6_1070 Depth=3
                                        ; =>      This Inner Loop Header: Depth=4
	s_add_i32 s42, s42, 1
                                        ; implicit-def: $sgpr44
	s_delay_alu instid0(SALU_CYCLE_1) | instskip(SKIP_1) | instid1(SALU_CYCLE_1)
	s_cmpk_lg_i32 s42, 0x2710
	s_cselect_b32 s43, -1, 0
	s_and_b32 vcc_lo, exec_lo, s43
	s_cbranch_vccz .LBB6_1137
.LBB6_1134:                             ;   in Loop: Header=BB6_1133 Depth=4
	s_and_not1_b32 s41, s41, exec_lo
	s_and_b32 s44, s44, exec_lo
	s_mov_b32 vcc_lo, -1
	s_or_b32 s41, s41, s44
	s_and_saveexec_b32 s44, s43
	s_cbranch_execz .LBB6_1132
; %bb.1135:                             ;   in Loop: Header=BB6_1133 Depth=4
	s_sleep 1
	s_cbranch_execnz .LBB6_1814
; %bb.1136:                             ;   in Loop: Header=BB6_1133 Depth=4
	ds_load_b64 v[8:9], v0
	s_and_not1_b32 s41, s41, exec_lo
	s_waitcnt lgkmcnt(0)
	v_cmp_ge_u64_e32 vcc_lo, v[8:9], v[48:49]
	s_or_not1_b32 vcc_lo, vcc_lo, exec_lo
	s_branch .LBB6_1132
.LBB6_1137:                             ;   in Loop: Header=BB6_1133 Depth=4
	s_cbranch_execnz .LBB6_1826
; %bb.1138:                             ;   in Loop: Header=BB6_1133 Depth=4
	ds_load_b64 v[8:9], v0
	s_and_not1_b32 s43, s43, exec_lo
	s_mov_b32 s42, 0
	s_mov_b32 s44, -1
	s_waitcnt lgkmcnt(0)
	s_waitcnt_vscnt null, 0x0
	flat_load_b32 v2, v[8:9] glc
	s_waitcnt vmcnt(0) lgkmcnt(0)
	buffer_gl1_inv
	buffer_gl0_inv
	v_cmp_eq_u32_e32 vcc_lo, 0, v2
	s_and_b32 vcc_lo, vcc_lo, exec_lo
	s_delay_alu instid0(SALU_CYCLE_1)
	s_or_b32 s43, s43, vcc_lo
	s_branch .LBB6_1134
.LBB6_1139:                             ;   in Loop: Header=BB6_1070 Depth=3
	s_or_b32 exec_lo, exec_lo, s39
	s_and_saveexec_b32 vcc_lo, s40
	s_delay_alu instid0(SALU_CYCLE_1)
	s_xor_b32 vcc_lo, exec_lo, vcc_lo
	s_cbranch_execz .LBB6_1141
; %bb.1140:                             ;   in Loop: Header=BB6_1070 Depth=3
	ds_store_b32 v0, v144
	s_cbranch_execnz .LBB6_1926
.LBB6_1141:                             ;   in Loop: Header=BB6_1070 Depth=3
	s_or_b32 exec_lo, exec_lo, s38
	;;#ASMSTART
	s_wakeup
	;;#ASMEND
.LBB6_1142:                             ;   in Loop: Header=BB6_1070 Depth=3
	s_or_b32 exec_lo, exec_lo, s17
.LBB6_1143:                             ;   in Loop: Header=BB6_1070 Depth=3
	s_and_not1_saveexec_b32 s16, s16
	s_cbranch_execz .LBB6_1145
; %bb.1144:                             ;   in Loop: Header=BB6_1070 Depth=3
	;;#ASMSTART
	s_waitcnt lgkmcnt(0) vmcnt(0)
	;;#ASMEND
	s_waitcnt lgkmcnt(0)
	s_waitcnt_vscnt null, 0x0
	s_barrier
.LBB6_1145:                             ;   in Loop: Header=BB6_1070 Depth=3
	s_or_b32 exec_lo, exec_lo, s16
	v_and_b32_e32 v2, 16, v30
.LBB6_1146:                             ;   in Loop: Header=BB6_1070 Depth=3
	s_or_b32 exec_lo, exec_lo, s13
	s_delay_alu instid0(VALU_DEP_1) | instskip(SKIP_1) | instid1(SALU_CYCLE_1)
	v_cmp_ne_u32_e32 vcc_lo, 0, v2
	s_xor_b32 s13, s10, -1
	s_and_b32 s16, vcc_lo, s13
	s_delay_alu instid0(SALU_CYCLE_1)
	s_and_saveexec_b32 s13, s16
	s_cbranch_execz .LBB6_1148
; %bb.1147:                             ;   in Loop: Header=BB6_1070 Depth=3
	s_waitcnt lgkmcnt(0)
	s_waitcnt_vscnt null, 0x0
	flat_store_b32 v[38:39], v144
.LBB6_1148:                             ;   in Loop: Header=BB6_1070 Depth=3
	s_or_b32 exec_lo, exec_lo, s13
	v_and_b32_e32 v2, 48, v30
	s_mov_b32 s13, exec_lo
	s_delay_alu instid0(VALU_DEP_1)
	v_cmpx_ne_u32_e32 0, v2
	s_cbranch_execz .LBB6_1150
; %bb.1149:                             ;   in Loop: Header=BB6_1070 Depth=3
	v_add_co_u32 v34, vcc_lo, v34, 2
	v_add_co_ci_u32_e32 v35, vcc_lo, 0, v35, vcc_lo
	s_waitcnt lgkmcnt(0)
	s_waitcnt_vscnt null, 0x0
	flat_store_b64 v[32:33], v[34:35]
.LBB6_1150:                             ;   in Loop: Header=BB6_1070 Depth=3
	s_or_b32 exec_lo, exec_lo, s13
	v_add_nc_u32_e32 v16, v12, v16
	s_mov_b32 s13, 0
	s_and_not1_b32 exec_lo, exec_lo, s15
	s_cbranch_execnz .LBB6_1070
; %bb.1151:                             ;   in Loop: Header=BB6_861 Depth=2
	s_or_b32 exec_lo, exec_lo, s15
.LBB6_1152:                             ;   in Loop: Header=BB6_861 Depth=2
	s_delay_alu instid0(SALU_CYCLE_1)
	s_or_b32 exec_lo, exec_lo, s14
	s_add_i32 s13, s37, 1
	s_cmp_eq_u32 s37, s22
	s_cbranch_scc1 .LBB6_1154
; %bb.1153:                             ;   in Loop: Header=BB6_861 Depth=2
	s_mov_b32 s37, s13
	s_branch .LBB6_861
.LBB6_1154:                             ;   in Loop: Header=BB6_51 Depth=1
	s_mov_b32 s13, s26
	v_mul_lo_u32 v10, v64, vcc_hi
	v_mul_lo_u32 v2, v65, s13
	v_mad_u64_u32 v[8:9], null, v64, s13, 0
	v_mov_b32_e32 v14, 0
	s_mov_b32 s16, 0
	s_delay_alu instid0(VALU_DEP_2) | instskip(NEXT) | instid1(VALU_DEP_3)
	v_add3_u32 v9, v9, v10, v2
	v_sub_co_u32 v10, vcc_lo, v66, v8
	s_delay_alu instid0(VALU_DEP_2) | instskip(NEXT) | instid1(VALU_DEP_1)
	v_sub_co_ci_u32_e32 v11, vcc_lo, v67, v9, vcc_lo
	v_cmp_lt_i64_e32 vcc_lo, v[64:65], v[10:11]
	v_cndmask_b32_e32 v10, v10, v64, vcc_lo
	s_delay_alu instid0(VALU_DEP_1) | instskip(NEXT) | instid1(VALU_DEP_1)
	v_max_i32_e32 v12, 0, v10
	v_add_nc_u32_e32 v2, 31, v12
	s_delay_alu instid0(VALU_DEP_1) | instskip(NEXT) | instid1(VALU_DEP_1)
	v_lshrrev_b32_e32 v2, 1, v2
	v_and_b32_e32 v11, 0x3ffffff0, v2
	v_cmp_lt_i32_e32 vcc_lo, 0, v10
	v_mov_b32_e32 v2, 0
	s_delay_alu instid0(VALU_DEP_3) | instskip(SKIP_1) | instid1(SALU_CYCLE_1)
	v_max_i32_e32 v13, s25, v11
	s_and_b32 s13, s27, vcc_lo
	s_and_saveexec_b32 s15, s13
	s_cbranch_execz .LBB6_1315
; %bb.1155:                             ;   in Loop: Header=BB6_51 Depth=1
	v_add_co_u32 v15, vcc_lo, v8, v145
	v_add_co_ci_u32_e32 v16, vcc_lo, v9, v146, vcc_lo
	v_mov_b32_e32 v14, 0
	s_mov_b32 s37, 1
	s_mov_b32 s17, -1
.LBB6_1156:                             ;   Parent Loop BB6_51 Depth=1
                                        ; =>  This Loop Header: Depth=2
                                        ;       Child Loop BB6_1165 Depth 3
                                        ;       Child Loop BB6_1192 Depth 3
	;; [unrolled: 1-line block ×9, first 2 shown]
	s_and_saveexec_b32 s14, s0
	s_cbranch_execz .LBB6_1159
; %bb.1157:                             ;   in Loop: Header=BB6_1156 Depth=2
	s_cbranch_execnz .LBB6_1570
; %bb.1158:                             ;   in Loop: Header=BB6_1156 Depth=2
	ds_load_b128 v[8:11], v0
	v_ashrrev_i32_e32 v2, 31, v14
	s_waitcnt lgkmcnt(0)
	v_add_co_u32 v17, vcc_lo, v10, v15
	v_add_co_ci_u32_e32 v18, vcc_lo, v11, v16, vcc_lo
	v_add_co_u32 v8, vcc_lo, v8, v15
	v_add_co_ci_u32_e32 v9, vcc_lo, v9, v16, vcc_lo
	s_delay_alu instid0(VALU_DEP_4) | instskip(NEXT) | instid1(VALU_DEP_4)
	v_add_co_u32 v17, vcc_lo, v17, v14
	v_add_co_ci_u32_e32 v18, vcc_lo, v18, v2, vcc_lo
	v_cmp_ne_u64_e32 vcc_lo, 0, v[10:11]
	v_add_co_u32 v8, s13, v8, v14
	s_delay_alu instid0(VALU_DEP_1) | instskip(NEXT) | instid1(VALU_DEP_4)
	v_add_co_ci_u32_e64 v9, s13, v9, v2, s13
	v_dual_cndmask_b32 v11, 0, v18 :: v_dual_cndmask_b32 v10, 0, v17
	ds_store_b64 v0, v[8:9]
	ds_store_b64 v0, v[10:11]
.LBB6_1159:                             ;   in Loop: Header=BB6_1156 Depth=2
	s_or_b32 exec_lo, exec_lo, s14
	v_and_b32_e32 v2, 4, v30
	s_mov_b32 s14, -1
	s_mov_b32 s13, exec_lo
	s_delay_alu instid0(VALU_DEP_1)
	v_cmpx_ne_u32_e32 0, v2
	s_cbranch_execz .LBB6_1173
; %bb.1160:                             ;   in Loop: Header=BB6_1156 Depth=2
	v_add_co_u32 v8, vcc_lo, v34, 2
	v_add_co_ci_u32_e32 v9, vcc_lo, 0, v35, vcc_lo
	v_mov_b32_e32 v2, 1
	s_mov_b32 s14, exec_lo
	s_delay_alu instid0(VALU_DEP_2)
	v_cmpx_lt_u64_e64 v[50:51], v[8:9]
	s_cbranch_execz .LBB6_1172
; %bb.1161:                             ;   in Loop: Header=BB6_1156 Depth=2
	v_mov_b32_e32 v2, 0
	s_mov_b32 s38, 0
                                        ; implicit-def: $sgpr39
	s_branch .LBB6_1165
.LBB6_1162:                             ;   in Loop: Header=BB6_1165 Depth=3
	s_or_b32 exec_lo, exec_lo, s43
	v_mov_b32_e32 v10, 0
	s_or_not1_b32 s42, s42, exec_lo
.LBB6_1163:                             ;   in Loop: Header=BB6_1165 Depth=3
	s_or_b32 exec_lo, exec_lo, s41
	s_delay_alu instid0(VALU_DEP_1) | instskip(SKIP_2) | instid1(SALU_CYCLE_1)
	v_mov_b32_e32 v2, v10
	s_and_not1_b32 vcc_lo, s39, exec_lo
	s_and_b32 s39, s42, exec_lo
	s_or_b32 s39, vcc_lo, s39
.LBB6_1164:                             ;   in Loop: Header=BB6_1165 Depth=3
	s_or_b32 exec_lo, exec_lo, s40
	s_waitcnt vmcnt(0) lgkmcnt(0)
	v_cmp_ge_u64_e32 vcc_lo, v[50:51], v[8:9]
	s_xor_b32 s40, s39, -1
	s_delay_alu instid0(SALU_CYCLE_1) | instskip(NEXT) | instid1(SALU_CYCLE_1)
	s_or_b32 vcc_lo, s40, vcc_lo
	s_and_b32 vcc_lo, exec_lo, vcc_lo
	s_delay_alu instid0(SALU_CYCLE_1) | instskip(NEXT) | instid1(SALU_CYCLE_1)
	s_or_b32 s38, vcc_lo, s38
	s_and_not1_b32 exec_lo, exec_lo, s38
	s_cbranch_execz .LBB6_1171
.LBB6_1165:                             ;   Parent Loop BB6_51 Depth=1
                                        ;     Parent Loop BB6_1156 Depth=2
                                        ; =>    This Inner Loop Header: Depth=3
	s_sleep 1
	flat_load_b64 v[50:51], v[32:33] glc
	v_and_b32_e32 v10, 64, v30
	s_and_not1_b32 s39, s39, exec_lo
	s_mov_b32 s40, exec_lo
	s_delay_alu instid0(VALU_DEP_1)
	v_cmpx_eq_u32_e32 0, v10
	s_cbranch_execz .LBB6_1164
; %bb.1166:                             ;   in Loop: Header=BB6_1165 Depth=3
	v_add_nc_u32_e32 v10, 1, v2
	s_mov_b32 s42, -1
	s_mov_b32 s41, exec_lo
	v_cmpx_lt_i32_e32 0x270e, v2
	s_cbranch_execz .LBB6_1163
; %bb.1167:                             ;   in Loop: Header=BB6_1165 Depth=3
	s_cbranch_execnz .LBB6_1614
; %bb.1168:                             ;   in Loop: Header=BB6_1165 Depth=3
	ds_load_b64 v[10:11], v0
	s_mov_b32 s43, exec_lo
	s_waitcnt vmcnt(0) lgkmcnt(0)
	s_waitcnt_vscnt null, 0x0
	flat_load_b32 v2, v[10:11] glc
	s_waitcnt vmcnt(0) lgkmcnt(0)
	buffer_gl1_inv
	buffer_gl0_inv
	v_cmpx_ne_u32_e32 0, v2
	s_cbranch_execz .LBB6_1162
; %bb.1169:                             ;   in Loop: Header=BB6_1165 Depth=3
	ds_store_b32 v0, v2
	s_cbranch_execnz .LBB6_1692
; %bb.1170:                             ;   in Loop: Header=BB6_1165 Depth=3
	v_or_b32_e32 v30, 64, v30
	s_xor_b32 s42, exec_lo, -1
	s_branch .LBB6_1162
.LBB6_1171:                             ;   in Loop: Header=BB6_1156 Depth=2
	s_or_b32 exec_lo, exec_lo, s38
	v_and_b32_e32 v2, 4, v30
.LBB6_1172:                             ;   in Loop: Header=BB6_1156 Depth=2
	s_or_b32 exec_lo, exec_lo, s14
	s_delay_alu instid0(VALU_DEP_1)
	v_cmp_eq_u32_e32 vcc_lo, 0, v2
	;;#ASMSTART
	s_wakeup
	;;#ASMEND
	s_or_not1_b32 s14, vcc_lo, exec_lo
.LBB6_1173:                             ;   in Loop: Header=BB6_1156 Depth=2
	s_or_b32 exec_lo, exec_lo, s13
	s_xor_b32 s13, s14, -1
	s_delay_alu instid0(SALU_CYCLE_1)
	s_and_saveexec_b32 s14, s13
	s_cbranch_execz .LBB6_1183
; %bb.1174:                             ;   in Loop: Header=BB6_1156 Depth=2
	v_and_b32_e32 v2, 0x100, v30
	s_mov_b32 s13, -1
                                        ; implicit-def: $vgpr8_vgpr9
	s_delay_alu instid0(VALU_DEP_1)
	v_cmp_ne_u32_e32 vcc_lo, 0, v2
	v_and_b32_e32 v2, 7, v34
	s_and_saveexec_b32 s38, vcc_lo
	s_cbranch_execz .LBB6_1178
; %bb.1175:                             ;   in Loop: Header=BB6_1156 Depth=2
	s_delay_alu instid0(VALU_DEP_1) | instskip(SKIP_4) | instid1(VALU_DEP_1)
	v_mad_u64_u32 v[10:11], null, v2, 24, v[6:7]
	flat_load_b32 v8, v[10:11]
	s_waitcnt vmcnt(0) lgkmcnt(0)
	v_cmp_ne_u32_e32 vcc_lo, 1, v8
	v_cmp_eq_u32_e64 s13, 1, v8
                                        ; implicit-def: $vgpr8_vgpr9
	s_and_saveexec_b32 s39, s13
	s_cbranch_execz .LBB6_1177
; %bb.1176:                             ;   in Loop: Header=BB6_1156 Depth=2
	flat_load_b32 v8, v[10:11] offset:4 glc
	s_waitcnt vmcnt(0) lgkmcnt(0)
	v_ashrrev_i32_e32 v9, 31, v8
.LBB6_1177:                             ;   in Loop: Header=BB6_1156 Depth=2
	s_or_b32 exec_lo, exec_lo, s39
	s_delay_alu instid0(SALU_CYCLE_1)
	s_or_not1_b32 s13, vcc_lo, exec_lo
.LBB6_1178:                             ;   in Loop: Header=BB6_1156 Depth=2
	s_or_b32 exec_lo, exec_lo, s38
	s_and_saveexec_b32 vcc_lo, s13
; %bb.1179:                             ;   in Loop: Header=BB6_1156 Depth=2
	v_mad_i64_i32 v[8:9], null, v2, v86, 0
; %bb.1180:                             ;   in Loop: Header=BB6_1156 Depth=2
	s_or_b32 exec_lo, exec_lo, vcc_lo
	s_delay_alu instid0(VALU_DEP_1) | instskip(SKIP_1) | instid1(VALU_DEP_3)
	v_add_co_u32 v8, vcc_lo, v36, v8
	v_and_b32_e32 v2, 0x2000, v30
	v_add_co_ci_u32_e32 v9, vcc_lo, v37, v9, vcc_lo
	s_mov_b32 s13, exec_lo
	ds_store_b64 v0, v[8:9] offset:720
	v_cmpx_ne_u32_e32 0, v2
	s_cbranch_execz .LBB6_1182
; %bb.1181:                             ;   in Loop: Header=BB6_1156 Depth=2
	ds_load_b64 v[8:9], v0 offset:584
	s_waitcnt lgkmcnt(0)
	v_add_co_u32 v8, vcc_lo, v8, 1
	v_add_co_ci_u32_e32 v9, vcc_lo, 0, v9, vcc_lo
	ds_store_b64 v0, v[8:9] offset:584
.LBB6_1182:                             ;   in Loop: Header=BB6_1156 Depth=2
	s_or_b32 exec_lo, exec_lo, s13
	v_add_co_u32 v34, vcc_lo, v34, 2
	v_add_co_ci_u32_e32 v35, vcc_lo, 0, v35, vcc_lo
.LBB6_1183:                             ;   in Loop: Header=BB6_1156 Depth=2
	s_or_b32 exec_lo, exec_lo, s14
	s_and_saveexec_b32 s13, s3
	s_cbranch_execz .LBB6_1205
; %bb.1184:                             ;   in Loop: Header=BB6_1156 Depth=2
	s_and_saveexec_b32 s14, s4
	s_delay_alu instid0(SALU_CYCLE_1)
	s_xor_b32 s14, exec_lo, s14
	s_cbranch_execz .LBB6_1202
; %bb.1185:                             ;   in Loop: Header=BB6_1156 Depth=2
	s_and_saveexec_b32 s38, s1
	s_cbranch_execz .LBB6_1201
; %bb.1186:                             ;   in Loop: Header=BB6_1156 Depth=2
	s_mov_b32 s40, exec_lo
	s_mov_b32 s39, exec_lo
	v_mbcnt_lo_u32_b32 v2, s40, 0
	s_waitcnt lgkmcnt(0)
	s_waitcnt_vscnt null, 0x0
	buffer_gl1_inv
	buffer_gl0_inv
	v_cmpx_eq_u32_e32 0, v2
	s_cbranch_execz .LBB6_1188
; %bb.1187:                             ;   in Loop: Header=BB6_1156 Depth=2
	s_bcnt1_i32_b32 vcc_lo, s40
	s_delay_alu instid0(SALU_CYCLE_1)
	v_mov_b32_e32 v2, vcc_lo
	ds_add_u64 v0, v[2:3]
	s_cbranch_execnz .LBB6_1728
.LBB6_1188:                             ;   in Loop: Header=BB6_1156 Depth=2
	s_or_b32 exec_lo, exec_lo, s39
	s_cbranch_execnz .LBB6_1700
; %bb.1189:                             ;   in Loop: Header=BB6_1156 Depth=2
	ds_load_b64 v[8:9], v0
	v_add_co_u32 v48, vcc_lo, v48, v97
	v_add_co_ci_u32_e32 v49, vcc_lo, 0, v49, vcc_lo
	s_mov_b32 s39, exec_lo
	s_waitcnt lgkmcnt(0)
	s_delay_alu instid0(VALU_DEP_1)
	v_cmpx_lt_u64_e64 v[8:9], v[48:49]
	s_cbranch_execz .LBB6_1200
; %bb.1190:                             ;   in Loop: Header=BB6_1156 Depth=2
	s_mov_b32 s40, 0
	s_mov_b32 s43, 0
                                        ; implicit-def: $sgpr41
                                        ; implicit-def: $sgpr42
	s_branch .LBB6_1192
.LBB6_1191:                             ;   in Loop: Header=BB6_1192 Depth=3
	s_or_b32 exec_lo, exec_lo, s45
	s_delay_alu instid0(SALU_CYCLE_1) | instskip(NEXT) | instid1(SALU_CYCLE_1)
	s_and_b32 vcc_lo, exec_lo, vcc_lo
	s_or_b32 s40, vcc_lo, s40
	s_and_not1_b32 vcc_lo, s41, exec_lo
	s_and_b32 s41, s42, exec_lo
	s_delay_alu instid0(SALU_CYCLE_1)
	s_or_b32 s41, vcc_lo, s41
	s_and_not1_b32 exec_lo, exec_lo, s40
	s_cbranch_execz .LBB6_1198
.LBB6_1192:                             ;   Parent Loop BB6_51 Depth=1
                                        ;     Parent Loop BB6_1156 Depth=2
                                        ; =>    This Inner Loop Header: Depth=3
	s_add_i32 s43, s43, 1
                                        ; implicit-def: $sgpr45
	s_delay_alu instid0(SALU_CYCLE_1) | instskip(SKIP_1) | instid1(SALU_CYCLE_1)
	s_cmpk_lg_i32 s43, 0x2710
	s_cselect_b32 s44, -1, 0
	s_and_b32 vcc_lo, exec_lo, s44
	s_cbranch_vccz .LBB6_1196
.LBB6_1193:                             ;   in Loop: Header=BB6_1192 Depth=3
	s_and_not1_b32 s42, s42, exec_lo
	s_and_b32 s45, s45, exec_lo
	s_mov_b32 vcc_lo, -1
	s_or_b32 s42, s42, s45
	s_and_saveexec_b32 s45, s44
	s_cbranch_execz .LBB6_1191
; %bb.1194:                             ;   in Loop: Header=BB6_1192 Depth=3
	s_sleep 1
	s_cbranch_execnz .LBB6_1780
; %bb.1195:                             ;   in Loop: Header=BB6_1192 Depth=3
	ds_load_b64 v[8:9], v0
	s_and_not1_b32 s42, s42, exec_lo
	s_waitcnt lgkmcnt(0)
	v_cmp_ge_u64_e32 vcc_lo, v[8:9], v[48:49]
	s_or_not1_b32 vcc_lo, vcc_lo, exec_lo
	s_branch .LBB6_1191
.LBB6_1196:                             ;   in Loop: Header=BB6_1192 Depth=3
	s_cbranch_execnz .LBB6_1794
; %bb.1197:                             ;   in Loop: Header=BB6_1192 Depth=3
	ds_load_b64 v[8:9], v0
	s_and_not1_b32 s44, s44, exec_lo
	s_mov_b32 s43, 0
	s_mov_b32 s45, -1
	s_waitcnt lgkmcnt(0)
	flat_load_b32 v2, v[8:9] glc
	s_waitcnt vmcnt(0) lgkmcnt(0)
	buffer_gl1_inv
	buffer_gl0_inv
	v_cmp_eq_u32_e32 vcc_lo, 0, v2
	s_and_b32 vcc_lo, vcc_lo, exec_lo
	s_delay_alu instid0(SALU_CYCLE_1)
	s_or_b32 s44, s44, vcc_lo
	s_branch .LBB6_1193
.LBB6_1198:                             ;   in Loop: Header=BB6_1156 Depth=2
	s_or_b32 exec_lo, exec_lo, s40
	s_and_saveexec_b32 vcc_lo, s41
	s_delay_alu instid0(SALU_CYCLE_1)
	s_xor_b32 vcc_lo, exec_lo, vcc_lo
	s_cbranch_execz .LBB6_1200
; %bb.1199:                             ;   in Loop: Header=BB6_1156 Depth=2
	ds_store_b32 v0, v144
	s_cbranch_execnz .LBB6_1914
.LBB6_1200:                             ;   in Loop: Header=BB6_1156 Depth=2
	s_or_b32 exec_lo, exec_lo, s39
	;;#ASMSTART
	s_wakeup
	;;#ASMEND
.LBB6_1201:                             ;   in Loop: Header=BB6_1156 Depth=2
	s_or_b32 exec_lo, exec_lo, s38
.LBB6_1202:                             ;   in Loop: Header=BB6_1156 Depth=2
	s_and_not1_saveexec_b32 s14, s14
	s_cbranch_execz .LBB6_1204
; %bb.1203:                             ;   in Loop: Header=BB6_1156 Depth=2
	s_waitcnt lgkmcnt(0)
	s_waitcnt_vscnt null, 0x0
	buffer_gl1_inv
	buffer_gl0_inv
	s_barrier
.LBB6_1204:                             ;   in Loop: Header=BB6_1156 Depth=2
	s_or_b32 exec_lo, exec_lo, s14
.LBB6_1205:                             ;   in Loop: Header=BB6_1156 Depth=2
	s_delay_alu instid0(SALU_CYCLE_1)
	s_or_b32 exec_lo, exec_lo, s13
	s_cbranch_execnz .LBB6_1564
; %bb.1206:                             ;   in Loop: Header=BB6_1156 Depth=2
	ds_load_b32 v8, v0
	v_and_b32_e32 v2, 0x4000, v30
	s_xor_b32 s13, s2, -1
	s_delay_alu instid0(VALU_DEP_1) | instskip(SKIP_1) | instid1(SALU_CYCLE_1)
	v_cmp_ne_u32_e32 vcc_lo, 0, v2
	s_and_b32 s14, s13, vcc_lo
	s_and_saveexec_b32 s13, s14
	s_cbranch_execz .LBB6_1228
; %bb.1207:                             ;   in Loop: Header=BB6_1156 Depth=2
	s_and_saveexec_b32 s14, s4
	s_delay_alu instid0(SALU_CYCLE_1)
	s_xor_b32 s14, exec_lo, s14
	s_cbranch_execz .LBB6_1225
; %bb.1208:                             ;   in Loop: Header=BB6_1156 Depth=2
	s_and_saveexec_b32 s38, s1
	s_cbranch_execz .LBB6_1224
; %bb.1209:                             ;   in Loop: Header=BB6_1156 Depth=2
	s_mov_b32 s40, exec_lo
	s_mov_b32 s39, exec_lo
	v_mbcnt_lo_u32_b32 v2, s40, 0
	s_waitcnt lgkmcnt(0)
	s_waitcnt_vscnt null, 0x0
	buffer_gl1_inv
	buffer_gl0_inv
	v_cmpx_eq_u32_e32 0, v2
	s_cbranch_execz .LBB6_1211
; %bb.1210:                             ;   in Loop: Header=BB6_1156 Depth=2
	s_bcnt1_i32_b32 vcc_lo, s40
	s_delay_alu instid0(SALU_CYCLE_1)
	v_mov_b32_e32 v2, vcc_lo
	ds_add_u64 v0, v[2:3]
	s_cbranch_execnz .LBB6_1772
.LBB6_1211:                             ;   in Loop: Header=BB6_1156 Depth=2
	s_or_b32 exec_lo, exec_lo, s39
	s_cbranch_execnz .LBB6_1752
; %bb.1212:                             ;   in Loop: Header=BB6_1156 Depth=2
	ds_load_b64 v[9:10], v0
	v_add_co_u32 v48, vcc_lo, v48, v97
	v_add_co_ci_u32_e32 v49, vcc_lo, 0, v49, vcc_lo
	s_mov_b32 s39, exec_lo
	s_waitcnt lgkmcnt(0)
	s_delay_alu instid0(VALU_DEP_1)
	v_cmpx_lt_u64_e64 v[9:10], v[48:49]
	s_cbranch_execz .LBB6_1223
; %bb.1213:                             ;   in Loop: Header=BB6_1156 Depth=2
	s_mov_b32 s40, 0
	s_mov_b32 s43, 0
                                        ; implicit-def: $sgpr41
                                        ; implicit-def: $sgpr42
	s_branch .LBB6_1215
.LBB6_1214:                             ;   in Loop: Header=BB6_1215 Depth=3
	s_or_b32 exec_lo, exec_lo, s45
	s_delay_alu instid0(SALU_CYCLE_1) | instskip(NEXT) | instid1(SALU_CYCLE_1)
	s_and_b32 vcc_lo, exec_lo, vcc_lo
	s_or_b32 s40, vcc_lo, s40
	s_and_not1_b32 vcc_lo, s41, exec_lo
	s_and_b32 s41, s42, exec_lo
	s_delay_alu instid0(SALU_CYCLE_1)
	s_or_b32 s41, vcc_lo, s41
	s_and_not1_b32 exec_lo, exec_lo, s40
	s_cbranch_execz .LBB6_1221
.LBB6_1215:                             ;   Parent Loop BB6_51 Depth=1
                                        ;     Parent Loop BB6_1156 Depth=2
                                        ; =>    This Inner Loop Header: Depth=3
	s_add_i32 s43, s43, 1
                                        ; implicit-def: $sgpr45
	s_delay_alu instid0(SALU_CYCLE_1) | instskip(SKIP_1) | instid1(SALU_CYCLE_1)
	s_cmpk_lg_i32 s43, 0x2710
	s_cselect_b32 s44, -1, 0
	s_and_b32 vcc_lo, exec_lo, s44
	s_cbranch_vccz .LBB6_1219
.LBB6_1216:                             ;   in Loop: Header=BB6_1215 Depth=3
	s_and_not1_b32 s42, s42, exec_lo
	s_and_b32 s45, s45, exec_lo
	s_mov_b32 vcc_lo, -1
	s_or_b32 s42, s42, s45
	s_and_saveexec_b32 s45, s44
	s_cbranch_execz .LBB6_1214
; %bb.1217:                             ;   in Loop: Header=BB6_1215 Depth=3
	s_sleep 1
	s_cbranch_execnz .LBB6_1830
; %bb.1218:                             ;   in Loop: Header=BB6_1215 Depth=3
	ds_load_b64 v[9:10], v0
	s_and_not1_b32 s42, s42, exec_lo
	s_waitcnt lgkmcnt(0)
	v_cmp_ge_u64_e32 vcc_lo, v[9:10], v[48:49]
	s_or_not1_b32 vcc_lo, vcc_lo, exec_lo
	s_branch .LBB6_1214
.LBB6_1219:                             ;   in Loop: Header=BB6_1215 Depth=3
	s_cbranch_execnz .LBB6_1842
; %bb.1220:                             ;   in Loop: Header=BB6_1215 Depth=3
	ds_load_b64 v[9:10], v0
	s_and_not1_b32 s44, s44, exec_lo
	s_mov_b32 s43, 0
	s_mov_b32 s45, -1
	s_waitcnt lgkmcnt(0)
	flat_load_b32 v2, v[9:10] glc
	s_waitcnt vmcnt(0) lgkmcnt(0)
	buffer_gl1_inv
	buffer_gl0_inv
	v_cmp_eq_u32_e32 vcc_lo, 0, v2
	s_and_b32 vcc_lo, vcc_lo, exec_lo
	s_delay_alu instid0(SALU_CYCLE_1)
	s_or_b32 s44, s44, vcc_lo
	s_branch .LBB6_1216
.LBB6_1221:                             ;   in Loop: Header=BB6_1156 Depth=2
	s_or_b32 exec_lo, exec_lo, s40
	s_and_saveexec_b32 vcc_lo, s41
	s_delay_alu instid0(SALU_CYCLE_1)
	s_xor_b32 vcc_lo, exec_lo, vcc_lo
	s_cbranch_execz .LBB6_1223
; %bb.1222:                             ;   in Loop: Header=BB6_1156 Depth=2
	ds_store_b32 v0, v144
	s_cbranch_execnz .LBB6_1928
.LBB6_1223:                             ;   in Loop: Header=BB6_1156 Depth=2
	s_or_b32 exec_lo, exec_lo, s39
	;;#ASMSTART
	s_wakeup
	;;#ASMEND
.LBB6_1224:                             ;   in Loop: Header=BB6_1156 Depth=2
	s_or_b32 exec_lo, exec_lo, s38
.LBB6_1225:                             ;   in Loop: Header=BB6_1156 Depth=2
	s_and_not1_saveexec_b32 s14, s14
	s_cbranch_execz .LBB6_1227
; %bb.1226:                             ;   in Loop: Header=BB6_1156 Depth=2
	s_waitcnt lgkmcnt(0)
	s_waitcnt_vscnt null, 0x0
	buffer_gl1_inv
	buffer_gl0_inv
	s_barrier
.LBB6_1227:                             ;   in Loop: Header=BB6_1156 Depth=2
	s_or_b32 exec_lo, exec_lo, s14
.LBB6_1228:                             ;   in Loop: Header=BB6_1156 Depth=2
	s_delay_alu instid0(SALU_CYCLE_1)
	s_or_b32 exec_lo, exec_lo, s13
	s_cbranch_execnz .LBB6_1622
; %bb.1229:                             ;   in Loop: Header=BB6_1156 Depth=2
	ds_load_b64 v[9:10], v0
	v_sub_nc_u32_e32 v2, v12, v14
	v_mov_b32_e32 v17, 0
	s_delay_alu instid0(VALU_DEP_2) | instskip(SKIP_3) | instid1(SALU_CYCLE_1)
	v_min_i32_e32 v13, v13, v2
	s_waitcnt lgkmcnt(0)
	v_cmp_eq_u64_e32 vcc_lo, 0, v[9:10]
	s_or_b32 s13, vcc_lo, vcc_lo
	s_and_b32 vcc_lo, exec_lo, s13
	s_cbranch_vccnz .LBB6_1263
; %bb.1230:                             ;   in Loop: Header=BB6_1156 Depth=2
	s_mov_b32 s13, -1
	s_and_saveexec_b32 s14, s6
	s_cbranch_execz .LBB6_1232
; %bb.1231:                             ;   in Loop: Header=BB6_1156 Depth=2
	ds_load_b32 v2, v0 offset:720
	s_waitcnt lgkmcnt(0)
	v_and_b32_e32 v2, 15, v2
	s_delay_alu instid0(VALU_DEP_1)
	v_cmp_eq_u32_e32 vcc_lo, 0, v2
	s_or_not1_b32 s13, vcc_lo, exec_lo
.LBB6_1232:                             ;   in Loop: Header=BB6_1156 Depth=2
	s_or_b32 exec_lo, exec_lo, s14
	s_and_saveexec_b32 s14, s5
	s_cbranch_execz .LBB6_1234
; %bb.1233:                             ;   in Loop: Header=BB6_1156 Depth=2
	ds_load_b32 v2, v0 offset:784
	s_waitcnt lgkmcnt(0)
	v_and_b32_e32 v2, 15, v2
	s_delay_alu instid0(VALU_DEP_1) | instskip(SKIP_3) | instid1(SALU_CYCLE_1)
	v_cmp_eq_u32_e32 vcc_lo, 0, v2
	s_and_b32 vcc_lo, s13, vcc_lo
	s_and_not1_b32 s13, s13, exec_lo
	s_and_b32 vcc_lo, vcc_lo, exec_lo
	s_or_b32 s13, s13, vcc_lo
.LBB6_1234:                             ;   in Loop: Header=BB6_1156 Depth=2
	s_or_b32 exec_lo, exec_lo, s14
	v_cmp_eq_u32_e32 vcc_lo, 0, v8
	s_xor_b32 s13, s13, -1
	v_mov_b32_e32 v22, v98
	v_cndmask_b32_e64 v2, 0, 1, s13
	;;#ASMSTART
	;;#ASMEND
	v_cndmask_b32_e32 v17, 0, v13, vcc_lo
	s_delay_alu instid0(VALU_DEP_2) | instskip(SKIP_2) | instid1(VALU_DEP_3)
	v_cmp_ne_u32_e32 vcc_lo, 0, v2
	v_mov_b32_e32 v2, 0
	s_mov_b32 s13, -1
	v_dual_mov_b32 v19, v0 :: v_dual_mov_b32 v18, v17
	s_cbranch_vccnz .LBB6_1250
; %bb.1235:                             ;   in Loop: Header=BB6_1156 Depth=2
	v_ashrrev_i32_e32 v2, 31, v17
	s_mov_b32 s13, exec_lo
	s_delay_alu instid0(VALU_DEP_1) | instskip(NEXT) | instid1(VALU_DEP_1)
	v_lshrrev_b32_e32 v2, 20, v2
	v_add_nc_u32_e32 v2, v17, v2
	s_delay_alu instid0(VALU_DEP_1) | instskip(NEXT) | instid1(VALU_DEP_1)
	v_ashrrev_i32_e32 v2, 12, v2
	v_sub_nc_u32_e32 v20, v2, v98
	s_delay_alu instid0(VALU_DEP_1)
	v_cmpx_lt_i32_e32 0, v20
	s_cbranch_execz .LBB6_1240
; %bb.1236:                             ;   in Loop: Header=BB6_1156 Depth=2
	s_cbranch_execnz .LBB6_1798
; %bb.1237:                             ;   in Loop: Header=BB6_1156 Depth=2
	ds_load_b64 v[8:9], v0
	s_mov_b32 s14, 0
	s_waitcnt lgkmcnt(0)
	v_dual_mov_b32 v11, v9 :: v_dual_mov_b32 v10, v8
.LBB6_1238:                             ;   Parent Loop BB6_51 Depth=1
                                        ;     Parent Loop BB6_1156 Depth=2
                                        ; =>    This Inner Loop Header: Depth=3
	s_delay_alu instid0(VALU_DEP_1) | instskip(NEXT) | instid1(VALU_DEP_2)
	v_add_co_u32 v18, vcc_lo, v101, v10
	v_add_co_ci_u32_e32 v19, vcc_lo, v103, v11, vcc_lo
	v_sub_nc_u32_e32 v20, v20, v97
	s_clause 0x7
	global_load_b128 v[66:69], v[18:19], off slc dlc
	global_load_b128 v[80:83], v[18:19], off offset:512 slc dlc
	global_load_b128 v[145:148], v[18:19], off offset:1024 slc dlc
	;; [unrolled: 1-line block ×7, first 2 shown]
	v_add_co_u32 v18, vcc_lo, v101, v8
	v_add_co_ci_u32_e32 v19, vcc_lo, v103, v9, vcc_lo
	v_add_co_u32 v10, vcc_lo, v10, v112
	v_add_co_ci_u32_e32 v11, vcc_lo, v11, v113, vcc_lo
	;; [unrolled: 2-line block ×3, first 2 shown]
	v_cmp_gt_i32_e32 vcc_lo, 1, v20
	s_waitcnt vmcnt(7)
	global_store_b128 v[18:19], v[66:69], off glc slc dlc
	s_waitcnt vmcnt(6)
	global_store_b128 v[18:19], v[80:83], off offset:512 glc slc dlc
	s_waitcnt vmcnt(5)
	global_store_b128 v[18:19], v[145:148], off offset:1024 glc slc dlc
	;; [unrolled: 2-line block ×7, first 2 shown]
	s_or_b32 s14, vcc_lo, s14
	s_delay_alu instid0(SALU_CYCLE_1)
	s_and_not1_b32 exec_lo, exec_lo, s14
	s_cbranch_execnz .LBB6_1238
; %bb.1239:                             ;   in Loop: Header=BB6_1156 Depth=2
	s_or_b32 exec_lo, exec_lo, s14
.LBB6_1240:                             ;   in Loop: Header=BB6_1156 Depth=2
	s_delay_alu instid0(SALU_CYCLE_1) | instskip(SKIP_4) | instid1(VALU_DEP_2)
	s_or_b32 exec_lo, exec_lo, s13
	v_lshlrev_b32_e32 v10, 12, v2
	v_mov_b32_e32 v2, 0
	s_mov_b32 s13, 0
	s_mov_b32 s38, exec_lo
                                        ; implicit-def: $vgpr18
                                        ; implicit-def: $vgpr19
                                        ; implicit-def: $vgpr22
	v_cmpx_ne_u32_e64 v17, v10
	s_cbranch_execz .LBB6_1249
; %bb.1241:                             ;   in Loop: Header=BB6_1156 Depth=2
	v_lshlrev_b32_e32 v2, 5, v20
	v_sub_nc_u32_e32 v9, v17, v10
	s_mov_b32 s39, exec_lo
	s_delay_alu instid0(VALU_DEP_2) | instskip(NEXT) | instid1(VALU_DEP_2)
	v_sub_nc_u32_e32 v2, v99, v2
	v_ashrrev_i32_e32 v11, 31, v9
	s_delay_alu instid0(VALU_DEP_2) | instskip(NEXT) | instid1(VALU_DEP_2)
	v_ashrrev_i32_e32 v8, 31, v2
	v_lshrrev_b32_e32 v11, 23, v11
	s_delay_alu instid0(VALU_DEP_2) | instskip(NEXT) | instid1(VALU_DEP_2)
	v_lshrrev_b32_e32 v8, 27, v8
	v_add_nc_u32_e32 v19, v9, v11
	s_delay_alu instid0(VALU_DEP_2) | instskip(NEXT) | instid1(VALU_DEP_2)
	v_add_nc_u32_e32 v8, v2, v8
	v_and_b32_e32 v11, 0xfffffe00, v19
	v_ashrrev_i32_e32 v19, 9, v19
	s_delay_alu instid0(VALU_DEP_3) | instskip(NEXT) | instid1(VALU_DEP_3)
	v_and_b32_e32 v18, 0xffffffe0, v8
	v_sub_nc_u32_e32 v21, v9, v11
	v_ashrrev_i32_e32 v8, 5, v8
	s_delay_alu instid0(VALU_DEP_3) | instskip(NEXT) | instid1(VALU_DEP_3)
	v_sub_nc_u32_e32 v20, v2, v18
	v_cmp_lt_i32_e32 vcc_lo, 15, v21
	s_delay_alu instid0(VALU_DEP_2) | instskip(SKIP_1) | instid1(VALU_DEP_2)
	v_lshlrev_b32_e32 v2, 4, v20
	v_add_co_ci_u32_e64 v19, s13, 0, v19, vcc_lo
	v_lshl_add_u32 v18, v8, 9, v2
	s_delay_alu instid0(VALU_DEP_2) | instskip(NEXT) | instid1(VALU_DEP_2)
	v_sub_nc_u32_e32 v23, v19, v8
	v_sub_nc_u32_e32 v2, v9, v18
	s_delay_alu instid0(VALU_DEP_1)
	v_cmpx_lt_i32_e32 15, v2
	s_cbranch_execz .LBB6_1246
; %bb.1242:                             ;   in Loop: Header=BB6_1156 Depth=2
	s_cbranch_execnz .LBB6_1854
; %bb.1243:                             ;   in Loop: Header=BB6_1156 Depth=2
	ds_load_b64 v[8:9], v0
	v_add_nc_u32_e32 v18, v18, v10
	s_mov_b32 s40, 0
	s_delay_alu instid0(VALU_DEP_1)
	v_ashrrev_i32_e32 v19, 31, v18
.LBB6_1244:                             ;   Parent Loop BB6_51 Depth=1
                                        ;     Parent Loop BB6_1156 Depth=2
                                        ; =>    This Inner Loop Header: Depth=3
	s_waitcnt lgkmcnt(0)
	v_add_co_u32 v70, s13, v8, v18
	s_delay_alu instid0(VALU_DEP_1)
	v_add_co_ci_u32_e64 v71, s13, v9, v19, s13
	v_sub_nc_u32_e32 v2, v2, v100
	v_add_co_u32 v18, s14, v18, v116
	global_load_b128 v[66:69], v[70:71], off slc dlc
	v_sub_nc_u32_e32 v23, v23, v97
	v_cmp_gt_i32_e64 s13, 16, v2
	v_add_co_ci_u32_e64 v19, s14, v19, v117, s14
	s_delay_alu instid0(VALU_DEP_2)
	s_or_b32 s40, s13, s40
	s_waitcnt vmcnt(0)
	global_store_b128 v[70:71], v[66:69], off glc slc dlc
	s_and_not1_b32 exec_lo, exec_lo, s40
	s_cbranch_execnz .LBB6_1244
; %bb.1245:                             ;   in Loop: Header=BB6_1156 Depth=2
	s_or_b32 exec_lo, exec_lo, s40
.LBB6_1246:                             ;   in Loop: Header=BB6_1156 Depth=2
	s_delay_alu instid0(SALU_CYCLE_1) | instskip(SKIP_4) | instid1(VALU_DEP_2)
	s_or_b32 exec_lo, exec_lo, s39
	v_and_b32_e32 v8, 15, v17
	v_mov_b32_e32 v2, 0
	s_mov_b32 s14, 0
	s_mov_b32 s39, exec_lo
                                        ; implicit-def: $vgpr19
                                        ; implicit-def: $vgpr22
	v_cndmask_b32_e32 v18, v21, v8, vcc_lo
	s_delay_alu instid0(VALU_DEP_1)
	v_cmpx_ne_u32_e32 0, v18
; %bb.1247:                             ;   in Loop: Header=BB6_1156 Depth=2
	v_cmp_lt_i32_e64 s13, 0, v23
	v_sub_nc_u32_e32 v8, v21, v8
	s_mov_b32 s14, exec_lo
	s_delay_alu instid0(VALU_DEP_2) | instskip(NEXT) | instid1(VALU_DEP_1)
	v_cndmask_b32_e64 v2, 0, v97, s13
	v_sub_nc_u32_e32 v2, v2, v23
	s_delay_alu instid0(VALU_DEP_1) | instskip(NEXT) | instid1(VALU_DEP_1)
	v_lshl_add_u32 v19, v2, 5, v20
	v_ashrrev_i32_e32 v2, 31, v19
	s_delay_alu instid0(VALU_DEP_1) | instskip(NEXT) | instid1(VALU_DEP_1)
	v_lshrrev_b32_e32 v2, 27, v2
	v_dual_cndmask_b32 v8, 0, v8 :: v_dual_add_nc_u32 v9, v19, v2
	s_delay_alu instid0(VALU_DEP_1) | instskip(NEXT) | instid1(VALU_DEP_2)
	v_add3_u32 v2, v11, v10, v8
	v_ashrrev_i32_e32 v22, 5, v9
; %bb.1248:                             ;   in Loop: Header=BB6_1156 Depth=2
	s_or_b32 exec_lo, exec_lo, s39
	s_delay_alu instid0(SALU_CYCLE_1)
	s_and_b32 s13, s14, exec_lo
.LBB6_1249:                             ;   in Loop: Header=BB6_1156 Depth=2
	s_or_b32 exec_lo, exec_lo, s38
.LBB6_1250:                             ;   in Loop: Header=BB6_1156 Depth=2
	s_and_saveexec_b32 s14, s13
	s_cbranch_execz .LBB6_1262
; %bb.1251:                             ;   in Loop: Header=BB6_1156 Depth=2
	s_delay_alu instid0(VALU_DEP_1) | instskip(SKIP_1) | instid1(VALU_DEP_1)
	v_ashrrev_i32_e32 v8, 31, v18
	s_mov_b32 s13, exec_lo
	v_lshrrev_b32_e32 v8, 22, v8
	s_delay_alu instid0(VALU_DEP_1) | instskip(NEXT) | instid1(VALU_DEP_1)
	v_add_nc_u32_e32 v8, v18, v8
	v_ashrrev_i32_e32 v21, 10, v8
	s_delay_alu instid0(VALU_DEP_1) | instskip(NEXT) | instid1(VALU_DEP_1)
	v_sub_nc_u32_e32 v20, v21, v22
	v_cmpx_lt_i32_e32 0, v20
	s_cbranch_execz .LBB6_1256
; %bb.1252:                             ;   in Loop: Header=BB6_1156 Depth=2
	s_cbranch_execnz .LBB6_1792
; %bb.1253:                             ;   in Loop: Header=BB6_1156 Depth=2
	v_ashrrev_i32_e32 v8, 31, v19
	s_mov_b32 s38, 0
	s_delay_alu instid0(VALU_DEP_1) | instskip(NEXT) | instid1(VALU_DEP_1)
	v_lshrrev_b32_e32 v8, 27, v8
	v_add_nc_u32_e32 v10, v19, v8
	ds_load_b64 v[8:9], v0
	v_lshlrev_b32_e32 v11, 10, v22
	v_and_b32_e32 v10, 0xffffffe0, v10
	s_delay_alu instid0(VALU_DEP_1) | instskip(NEXT) | instid1(VALU_DEP_1)
	v_sub_nc_u32_e32 v10, v19, v10
	v_add3_u32 v22, v2, v10, v11
	s_delay_alu instid0(VALU_DEP_1)
	v_ashrrev_i32_e32 v23, 31, v22
	s_waitcnt lgkmcnt(0)
	v_dual_mov_b32 v11, v9 :: v_dual_mov_b32 v10, v8
.LBB6_1254:                             ;   Parent Loop BB6_51 Depth=1
                                        ;     Parent Loop BB6_1156 Depth=2
                                        ; =>    This Inner Loop Header: Depth=3
	s_delay_alu instid0(VALU_DEP_1) | instskip(NEXT) | instid1(VALU_DEP_2)
	v_add_co_u32 v66, vcc_lo, v22, v10
	v_add_co_ci_u32_e32 v67, vcc_lo, v23, v11, vcc_lo
	v_sub_nc_u32_e32 v20, v20, v97
	s_clause 0x1f
	flat_load_u8 v68, v[66:67] slc dlc
	flat_load_u8 v69, v[66:67] offset:32 slc dlc
	flat_load_u8 v70, v[66:67] offset:64 slc dlc
	;; [unrolled: 1-line block ×31, first 2 shown]
	v_add_co_u32 v66, vcc_lo, v22, v8
	v_add_co_ci_u32_e32 v67, vcc_lo, v23, v9, vcc_lo
	v_add_co_u32 v10, vcc_lo, v10, v119
	v_add_co_ci_u32_e32 v11, vcc_lo, v11, v128, vcc_lo
	;; [unrolled: 2-line block ×3, first 2 shown]
	v_cmp_gt_i32_e32 vcc_lo, 1, v20
	s_waitcnt vmcnt(31) lgkmcnt(31)
	flat_store_b8 v[66:67], v68 glc slc dlc
	s_waitcnt vmcnt(30) lgkmcnt(31)
	flat_store_b8 v[66:67], v69 offset:32 glc slc dlc
	s_waitcnt vmcnt(29) lgkmcnt(31)
	flat_store_b8 v[66:67], v70 offset:64 glc slc dlc
	;; [unrolled: 2-line block ×31, first 2 shown]
	s_or_b32 s38, vcc_lo, s38
	s_delay_alu instid0(SALU_CYCLE_1)
	s_and_not1_b32 exec_lo, exec_lo, s38
	s_cbranch_execnz .LBB6_1254
; %bb.1255:                             ;   in Loop: Header=BB6_1156 Depth=2
	s_or_b32 exec_lo, exec_lo, s38
.LBB6_1256:                             ;   in Loop: Header=BB6_1156 Depth=2
	s_delay_alu instid0(SALU_CYCLE_1) | instskip(SKIP_2) | instid1(VALU_DEP_1)
	s_or_b32 exec_lo, exec_lo, s13
	v_lshlrev_b32_e32 v8, 10, v21
	s_mov_b32 s38, exec_lo
	v_cmpx_ne_u32_e64 v18, v8
	s_cbranch_execz .LBB6_1261
; %bb.1257:                             ;   in Loop: Header=BB6_1156 Depth=2
	v_ashrrev_i32_e32 v9, 31, v19
	v_lshlrev_b32_e32 v10, 5, v20
	s_delay_alu instid0(VALU_DEP_2) | instskip(NEXT) | instid1(VALU_DEP_1)
	v_lshrrev_b32_e32 v9, 27, v9
	v_add_nc_u32_e32 v9, v19, v9
	s_delay_alu instid0(VALU_DEP_1) | instskip(NEXT) | instid1(VALU_DEP_1)
	v_and_b32_e32 v9, 0xffffffe0, v9
	v_sub_nc_u32_e32 v9, v19, v9
	s_delay_alu instid0(VALU_DEP_1) | instskip(NEXT) | instid1(VALU_DEP_1)
	v_sub_nc_u32_e32 v9, v9, v10
	v_add_nc_u32_e32 v11, v8, v9
	s_delay_alu instid0(VALU_DEP_1) | instskip(NEXT) | instid1(VALU_DEP_1)
	v_sub_nc_u32_e32 v10, v18, v11
	v_cmp_lt_i32_e32 vcc_lo, 0, v10
	s_and_b32 exec_lo, exec_lo, vcc_lo
	s_cbranch_execz .LBB6_1261
; %bb.1258:                             ;   in Loop: Header=BB6_1156 Depth=2
	s_cbranch_execnz .LBB6_1848
; %bb.1259:                             ;   in Loop: Header=BB6_1156 Depth=2
	ds_load_b64 v[8:9], v0
	v_add_nc_u32_e32 v2, v11, v2
	s_mov_b32 s39, 0
	s_delay_alu instid0(VALU_DEP_1)
	v_ashrrev_i32_e32 v11, 31, v2
.LBB6_1260:                             ;   Parent Loop BB6_51 Depth=1
                                        ;     Parent Loop BB6_1156 Depth=2
                                        ; =>    This Inner Loop Header: Depth=3
	s_waitcnt lgkmcnt(0)
	v_add_co_u32 v18, vcc_lo, v8, v2
	s_delay_alu instid0(VALU_DEP_2)
	v_add_co_ci_u32_e32 v19, vcc_lo, v9, v11, vcc_lo
	v_sub_nc_u32_e32 v10, v10, v115
	v_add_co_u32 v2, s13, v2, v130
	flat_load_u8 v20, v[18:19] slc dlc
	v_add_co_ci_u32_e64 v11, s13, v11, v131, s13
	v_cmp_gt_i32_e32 vcc_lo, 1, v10
	s_or_b32 s39, vcc_lo, s39
	s_waitcnt vmcnt(0) lgkmcnt(0)
	flat_store_b8 v[18:19], v20 glc slc dlc
	s_and_not1_b32 exec_lo, exec_lo, s39
	s_cbranch_execnz .LBB6_1260
.LBB6_1261:                             ;   in Loop: Header=BB6_1156 Depth=2
	s_or_b32 exec_lo, exec_lo, s38
.LBB6_1262:                             ;   in Loop: Header=BB6_1156 Depth=2
	s_delay_alu instid0(SALU_CYCLE_1)
	s_or_b32 exec_lo, exec_lo, s14
.LBB6_1263:                             ;   in Loop: Header=BB6_1156 Depth=2
	s_and_saveexec_b32 s13, s3
	s_cbranch_execz .LBB6_1285
; %bb.1264:                             ;   in Loop: Header=BB6_1156 Depth=2
	s_and_saveexec_b32 s14, s4
	s_delay_alu instid0(SALU_CYCLE_1)
	s_xor_b32 s14, exec_lo, s14
	s_cbranch_execz .LBB6_1282
; %bb.1265:                             ;   in Loop: Header=BB6_1156 Depth=2
	s_and_saveexec_b32 s38, s1
	s_cbranch_execz .LBB6_1281
; %bb.1266:                             ;   in Loop: Header=BB6_1156 Depth=2
	s_mov_b32 s40, exec_lo
	s_mov_b32 s39, exec_lo
	v_mbcnt_lo_u32_b32 v2, s40, 0
	s_waitcnt lgkmcnt(0)
	s_waitcnt_vscnt null, 0x0
	buffer_gl1_inv
	buffer_gl0_inv
	v_cmpx_eq_u32_e32 0, v2
	s_cbranch_execz .LBB6_1268
; %bb.1267:                             ;   in Loop: Header=BB6_1156 Depth=2
	s_bcnt1_i32_b32 vcc_lo, s40
	s_delay_alu instid0(SALU_CYCLE_1)
	v_mov_b32_e32 v2, vcc_lo
	ds_add_u64 v0, v[2:3]
	s_cbranch_execnz .LBB6_1834
.LBB6_1268:                             ;   in Loop: Header=BB6_1156 Depth=2
	s_or_b32 exec_lo, exec_lo, s39
	s_cbranch_execnz .LBB6_1810
; %bb.1269:                             ;   in Loop: Header=BB6_1156 Depth=2
	ds_load_b64 v[8:9], v0
	v_add_co_u32 v48, vcc_lo, v48, v97
	v_add_co_ci_u32_e32 v49, vcc_lo, 0, v49, vcc_lo
	s_mov_b32 s39, exec_lo
	s_waitcnt lgkmcnt(0)
	s_delay_alu instid0(VALU_DEP_1)
	v_cmpx_lt_u64_e64 v[8:9], v[48:49]
	s_cbranch_execz .LBB6_1280
; %bb.1270:                             ;   in Loop: Header=BB6_1156 Depth=2
	s_mov_b32 s40, 0
	s_mov_b32 s43, 0
                                        ; implicit-def: $sgpr41
                                        ; implicit-def: $sgpr42
	s_branch .LBB6_1272
.LBB6_1271:                             ;   in Loop: Header=BB6_1272 Depth=3
	s_or_b32 exec_lo, exec_lo, s45
	s_delay_alu instid0(SALU_CYCLE_1) | instskip(NEXT) | instid1(SALU_CYCLE_1)
	s_and_b32 vcc_lo, exec_lo, vcc_lo
	s_or_b32 s40, vcc_lo, s40
	s_and_not1_b32 vcc_lo, s41, exec_lo
	s_and_b32 s41, s42, exec_lo
	s_delay_alu instid0(SALU_CYCLE_1)
	s_or_b32 s41, vcc_lo, s41
	s_and_not1_b32 exec_lo, exec_lo, s40
	s_cbranch_execz .LBB6_1278
.LBB6_1272:                             ;   Parent Loop BB6_51 Depth=1
                                        ;     Parent Loop BB6_1156 Depth=2
                                        ; =>    This Inner Loop Header: Depth=3
	s_add_i32 s43, s43, 1
                                        ; implicit-def: $sgpr45
	s_delay_alu instid0(SALU_CYCLE_1) | instskip(SKIP_1) | instid1(SALU_CYCLE_1)
	s_cmpk_lg_i32 s43, 0x2710
	s_cselect_b32 s44, -1, 0
	s_and_b32 vcc_lo, exec_lo, s44
	s_cbranch_vccz .LBB6_1276
.LBB6_1273:                             ;   in Loop: Header=BB6_1272 Depth=3
	s_and_not1_b32 s42, s42, exec_lo
	s_and_b32 s45, s45, exec_lo
	s_mov_b32 vcc_lo, -1
	s_or_b32 s42, s42, s45
	s_and_saveexec_b32 s45, s44
	s_cbranch_execz .LBB6_1271
; %bb.1274:                             ;   in Loop: Header=BB6_1272 Depth=3
	s_sleep 1
	s_cbranch_execnz .LBB6_1868
; %bb.1275:                             ;   in Loop: Header=BB6_1272 Depth=3
	ds_load_b64 v[8:9], v0
	s_and_not1_b32 s42, s42, exec_lo
	s_waitcnt lgkmcnt(0)
	v_cmp_ge_u64_e32 vcc_lo, v[8:9], v[48:49]
	s_or_not1_b32 vcc_lo, vcc_lo, exec_lo
	s_branch .LBB6_1271
.LBB6_1276:                             ;   in Loop: Header=BB6_1272 Depth=3
	s_cbranch_execnz .LBB6_1878
; %bb.1277:                             ;   in Loop: Header=BB6_1272 Depth=3
	ds_load_b64 v[8:9], v0
	s_and_not1_b32 s44, s44, exec_lo
	s_mov_b32 s43, 0
	s_mov_b32 s45, -1
	s_waitcnt lgkmcnt(0)
	flat_load_b32 v2, v[8:9] glc
	s_waitcnt vmcnt(0) lgkmcnt(0)
	buffer_gl1_inv
	buffer_gl0_inv
	v_cmp_eq_u32_e32 vcc_lo, 0, v2
	s_and_b32 vcc_lo, vcc_lo, exec_lo
	s_delay_alu instid0(SALU_CYCLE_1)
	s_or_b32 s44, s44, vcc_lo
	s_branch .LBB6_1273
.LBB6_1278:                             ;   in Loop: Header=BB6_1156 Depth=2
	s_or_b32 exec_lo, exec_lo, s40
	s_and_saveexec_b32 vcc_lo, s41
	s_delay_alu instid0(SALU_CYCLE_1)
	s_xor_b32 vcc_lo, exec_lo, vcc_lo
	s_cbranch_execz .LBB6_1280
; %bb.1279:                             ;   in Loop: Header=BB6_1156 Depth=2
	ds_store_b32 v0, v144
	s_cbranch_execnz .LBB6_1932
.LBB6_1280:                             ;   in Loop: Header=BB6_1156 Depth=2
	s_or_b32 exec_lo, exec_lo, s39
	;;#ASMSTART
	s_wakeup
	;;#ASMEND
.LBB6_1281:                             ;   in Loop: Header=BB6_1156 Depth=2
	s_or_b32 exec_lo, exec_lo, s38
.LBB6_1282:                             ;   in Loop: Header=BB6_1156 Depth=2
	s_and_not1_saveexec_b32 s14, s14
	s_cbranch_execz .LBB6_1284
; %bb.1283:                             ;   in Loop: Header=BB6_1156 Depth=2
	s_waitcnt lgkmcnt(0)
	s_waitcnt_vscnt null, 0x0
	buffer_gl1_inv
	buffer_gl0_inv
	s_barrier
.LBB6_1284:                             ;   in Loop: Header=BB6_1156 Depth=2
	s_or_b32 exec_lo, exec_lo, s14
.LBB6_1285:                             ;   in Loop: Header=BB6_1156 Depth=2
	s_delay_alu instid0(SALU_CYCLE_1) | instskip(SKIP_1) | instid1(SALU_CYCLE_1)
	s_or_b32 exec_lo, exec_lo, s13
	s_and_saveexec_b32 s13, s7
	s_xor_b32 s14, exec_lo, s13
	s_cbranch_execz .LBB6_1289
; %bb.1286:                             ;   in Loop: Header=BB6_1156 Depth=2
	v_and_b32_e32 v2, 16, v30
	v_cmp_lt_i32_e32 vcc_lo, 0, v17
	s_delay_alu instid0(VALU_DEP_2) | instskip(NEXT) | instid1(VALU_DEP_1)
	v_cmp_ne_u32_e64 s13, 0, v2
	s_and_b32 vcc_lo, s13, vcc_lo
	s_delay_alu instid0(SALU_CYCLE_1)
	s_and_saveexec_b32 s13, vcc_lo
	s_cbranch_execz .LBB6_1288
; %bb.1287:                             ;   in Loop: Header=BB6_1156 Depth=2
	s_waitcnt lgkmcnt(0)
	s_waitcnt_vscnt null, 0x0
	buffer_gl1_inv
	buffer_gl0_inv
.LBB6_1288:                             ;   in Loop: Header=BB6_1156 Depth=2
	s_or_b32 exec_lo, exec_lo, s13
.LBB6_1289:                             ;   in Loop: Header=BB6_1156 Depth=2
	s_and_not1_saveexec_b32 s13, s14
	s_cbranch_execz .LBB6_1311
; %bb.1290:                             ;   in Loop: Header=BB6_1156 Depth=2
	s_and_saveexec_b32 s14, s4
	s_delay_alu instid0(SALU_CYCLE_1)
	s_xor_b32 s14, exec_lo, s14
	s_cbranch_execz .LBB6_1308
; %bb.1291:                             ;   in Loop: Header=BB6_1156 Depth=2
	s_and_saveexec_b32 s38, s1
	s_cbranch_execz .LBB6_1307
; %bb.1292:                             ;   in Loop: Header=BB6_1156 Depth=2
	s_mov_b32 s40, exec_lo
	s_mov_b32 s39, exec_lo
	v_mbcnt_lo_u32_b32 v2, s40, 0
	;;#ASMSTART
	s_waitcnt lgkmcnt(0) vmcnt(0)
	;;#ASMEND
	s_delay_alu instid0(VALU_DEP_1)
	v_cmpx_eq_u32_e32 0, v2
	s_cbranch_execz .LBB6_1294
; %bb.1293:                             ;   in Loop: Header=BB6_1156 Depth=2
	s_bcnt1_i32_b32 vcc_lo, s40
	s_delay_alu instid0(SALU_CYCLE_1)
	v_mov_b32_e32 v2, vcc_lo
	ds_add_u64 v0, v[2:3]
	s_cbranch_execnz .LBB6_1840
.LBB6_1294:                             ;   in Loop: Header=BB6_1156 Depth=2
	s_or_b32 exec_lo, exec_lo, s39
	s_cbranch_execnz .LBB6_1820
; %bb.1295:                             ;   in Loop: Header=BB6_1156 Depth=2
	ds_load_b64 v[8:9], v0
	v_add_co_u32 v48, vcc_lo, v48, v97
	v_add_co_ci_u32_e32 v49, vcc_lo, 0, v49, vcc_lo
	s_mov_b32 s39, exec_lo
	s_waitcnt lgkmcnt(0)
	s_delay_alu instid0(VALU_DEP_1)
	v_cmpx_lt_u64_e64 v[8:9], v[48:49]
	s_cbranch_execz .LBB6_1306
; %bb.1296:                             ;   in Loop: Header=BB6_1156 Depth=2
	s_mov_b32 s40, 0
	s_mov_b32 s43, 0
                                        ; implicit-def: $sgpr41
                                        ; implicit-def: $sgpr42
	s_branch .LBB6_1298
.LBB6_1297:                             ;   in Loop: Header=BB6_1298 Depth=3
	s_or_b32 exec_lo, exec_lo, s45
	s_delay_alu instid0(SALU_CYCLE_1) | instskip(NEXT) | instid1(SALU_CYCLE_1)
	s_and_b32 vcc_lo, exec_lo, vcc_lo
	s_or_b32 s40, vcc_lo, s40
	s_and_not1_b32 vcc_lo, s41, exec_lo
	s_and_b32 s41, s42, exec_lo
	s_delay_alu instid0(SALU_CYCLE_1)
	s_or_b32 s41, vcc_lo, s41
	s_and_not1_b32 exec_lo, exec_lo, s40
	s_cbranch_execz .LBB6_1304
.LBB6_1298:                             ;   Parent Loop BB6_51 Depth=1
                                        ;     Parent Loop BB6_1156 Depth=2
                                        ; =>    This Inner Loop Header: Depth=3
	s_add_i32 s43, s43, 1
                                        ; implicit-def: $sgpr45
	s_delay_alu instid0(SALU_CYCLE_1) | instskip(SKIP_1) | instid1(SALU_CYCLE_1)
	s_cmpk_lg_i32 s43, 0x2710
	s_cselect_b32 s44, -1, 0
	s_and_b32 vcc_lo, exec_lo, s44
	s_cbranch_vccnz .LBB6_1301
; %bb.1299:                             ;   in Loop: Header=BB6_1298 Depth=3
	s_cbranch_execnz .LBB6_1886
; %bb.1300:                             ;   in Loop: Header=BB6_1298 Depth=3
	ds_load_b64 v[8:9], v0
	s_and_not1_b32 s44, s44, exec_lo
	s_mov_b32 s43, 0
	s_mov_b32 s45, -1
	s_waitcnt lgkmcnt(0)
	s_waitcnt_vscnt null, 0x0
	flat_load_b32 v2, v[8:9] glc
	s_waitcnt vmcnt(0) lgkmcnt(0)
	buffer_gl1_inv
	buffer_gl0_inv
	v_cmp_eq_u32_e32 vcc_lo, 0, v2
	s_and_b32 vcc_lo, vcc_lo, exec_lo
	s_delay_alu instid0(SALU_CYCLE_1)
	s_or_b32 s44, s44, vcc_lo
.LBB6_1301:                             ;   in Loop: Header=BB6_1298 Depth=3
	s_and_not1_b32 s42, s42, exec_lo
	s_and_b32 s45, s45, exec_lo
	s_mov_b32 vcc_lo, -1
	s_or_b32 s42, s42, s45
	s_and_saveexec_b32 s45, s44
	s_cbranch_execz .LBB6_1297
; %bb.1302:                             ;   in Loop: Header=BB6_1298 Depth=3
	s_sleep 1
	s_cbranch_execnz .LBB6_1872
; %bb.1303:                             ;   in Loop: Header=BB6_1298 Depth=3
	ds_load_b64 v[8:9], v0
	s_and_not1_b32 s42, s42, exec_lo
	s_waitcnt lgkmcnt(0)
	v_cmp_ge_u64_e32 vcc_lo, v[8:9], v[48:49]
	s_or_not1_b32 vcc_lo, vcc_lo, exec_lo
	s_branch .LBB6_1297
.LBB6_1304:                             ;   in Loop: Header=BB6_1156 Depth=2
	s_or_b32 exec_lo, exec_lo, s40
	s_and_saveexec_b32 vcc_lo, s41
	s_delay_alu instid0(SALU_CYCLE_1)
	s_xor_b32 vcc_lo, exec_lo, vcc_lo
	s_cbranch_execz .LBB6_1306
; %bb.1305:                             ;   in Loop: Header=BB6_1156 Depth=2
	ds_store_b32 v0, v144
	s_cbranch_execnz .LBB6_1934
.LBB6_1306:                             ;   in Loop: Header=BB6_1156 Depth=2
	s_or_b32 exec_lo, exec_lo, s39
	;;#ASMSTART
	s_wakeup
	;;#ASMEND
.LBB6_1307:                             ;   in Loop: Header=BB6_1156 Depth=2
	s_or_b32 exec_lo, exec_lo, s38
.LBB6_1308:                             ;   in Loop: Header=BB6_1156 Depth=2
	s_and_not1_saveexec_b32 s14, s14
	s_cbranch_execz .LBB6_1310
; %bb.1309:                             ;   in Loop: Header=BB6_1156 Depth=2
	;;#ASMSTART
	s_waitcnt lgkmcnt(0) vmcnt(0)
	;;#ASMEND
	s_waitcnt lgkmcnt(0)
	s_waitcnt_vscnt null, 0x0
	s_barrier
.LBB6_1310:                             ;   in Loop: Header=BB6_1156 Depth=2
	s_or_b32 exec_lo, exec_lo, s14
.LBB6_1311:                             ;   in Loop: Header=BB6_1156 Depth=2
	s_delay_alu instid0(SALU_CYCLE_1) | instskip(SKIP_2) | instid1(VALU_DEP_1)
	s_or_b32 exec_lo, exec_lo, s13
	v_and_b32_e32 v2, 32, v30
	s_mov_b32 s13, exec_lo
	v_cmpx_ne_u32_e32 0, v2
	s_cbranch_execz .LBB6_1313
; %bb.1312:                             ;   in Loop: Header=BB6_1156 Depth=2
	v_add_co_u32 v34, vcc_lo, v34, 2
	v_add_co_ci_u32_e32 v35, vcc_lo, 0, v35, vcc_lo
	s_waitcnt lgkmcnt(0)
	s_waitcnt_vscnt null, 0x0
	flat_store_b64 v[32:33], v[34:35]
.LBB6_1313:                             ;   in Loop: Header=BB6_1156 Depth=2
	s_or_b32 exec_lo, exec_lo, s13
	v_add_nc_u32_e32 v14, v13, v14
	s_xor_b32 s13, s17, -1
	v_mov_b32_e32 v2, s37
	s_mov_b32 s17, 0
	s_mov_b32 s37, 2
	v_cmp_ge_i32_e32 vcc_lo, v14, v12
	s_or_b32 s13, s13, vcc_lo
	s_delay_alu instid0(SALU_CYCLE_1) | instskip(NEXT) | instid1(SALU_CYCLE_1)
	s_and_b32 s13, exec_lo, s13
	s_or_b32 s16, s13, s16
	s_delay_alu instid0(SALU_CYCLE_1)
	s_and_not1_b32 exec_lo, exec_lo, s16
	s_cbranch_execnz .LBB6_1156
; %bb.1314:                             ;   in Loop: Header=BB6_51 Depth=1
	s_or_b32 exec_lo, exec_lo, s16
.LBB6_1315:                             ;   in Loop: Header=BB6_51 Depth=1
	s_delay_alu instid0(SALU_CYCLE_1) | instskip(NEXT) | instid1(SALU_CYCLE_1)
	s_or_b32 exec_lo, exec_lo, s15
	s_mov_b32 s14, exec_lo
	v_cmpx_gt_i32_e32 2, v2
	s_cbranch_execz .LBB6_1394
; %bb.1316:                             ;   in Loop: Header=BB6_51 Depth=1
	v_cmp_eq_u32_e64 s13, 0, v2
	s_mov_b32 s15, 0
.LBB6_1317:                             ;   Parent Loop BB6_51 Depth=1
                                        ; =>  This Loop Header: Depth=2
                                        ;       Child Loop BB6_1323 Depth 3
                                        ;       Child Loop BB6_1350 Depth 3
	;; [unrolled: 1-line block ×3, first 2 shown]
	v_and_b32_e32 v2, 4, v30
	s_mov_b32 s17, -1
	s_mov_b32 s16, exec_lo
	s_delay_alu instid0(VALU_DEP_1)
	v_cmpx_ne_u32_e32 0, v2
	s_cbranch_execz .LBB6_1331
; %bb.1318:                             ;   in Loop: Header=BB6_1317 Depth=2
	v_add_co_u32 v8, vcc_lo, v34, 2
	v_add_co_ci_u32_e32 v9, vcc_lo, 0, v35, vcc_lo
	v_mov_b32_e32 v2, 1
	s_mov_b32 s17, exec_lo
	s_delay_alu instid0(VALU_DEP_2)
	v_cmpx_lt_u64_e64 v[50:51], v[8:9]
	s_cbranch_execz .LBB6_1330
; %bb.1319:                             ;   in Loop: Header=BB6_1317 Depth=2
	v_mov_b32_e32 v2, 0
	s_mov_b32 s37, 0
                                        ; implicit-def: $sgpr38
	s_branch .LBB6_1323
.LBB6_1320:                             ;   in Loop: Header=BB6_1323 Depth=3
	s_or_b32 exec_lo, exec_lo, s42
	v_mov_b32_e32 v10, 0
	s_or_not1_b32 s41, s41, exec_lo
.LBB6_1321:                             ;   in Loop: Header=BB6_1323 Depth=3
	s_or_b32 exec_lo, exec_lo, s40
	s_delay_alu instid0(VALU_DEP_1) | instskip(SKIP_2) | instid1(SALU_CYCLE_1)
	v_mov_b32_e32 v2, v10
	s_and_not1_b32 vcc_lo, s38, exec_lo
	s_and_b32 s38, s41, exec_lo
	s_or_b32 s38, vcc_lo, s38
.LBB6_1322:                             ;   in Loop: Header=BB6_1323 Depth=3
	s_or_b32 exec_lo, exec_lo, s39
	s_waitcnt vmcnt(0) lgkmcnt(0)
	v_cmp_ge_u64_e32 vcc_lo, v[50:51], v[8:9]
	s_xor_b32 s39, s38, -1
	s_delay_alu instid0(SALU_CYCLE_1) | instskip(NEXT) | instid1(SALU_CYCLE_1)
	s_or_b32 vcc_lo, s39, vcc_lo
	s_and_b32 vcc_lo, exec_lo, vcc_lo
	s_delay_alu instid0(SALU_CYCLE_1) | instskip(NEXT) | instid1(SALU_CYCLE_1)
	s_or_b32 s37, vcc_lo, s37
	s_and_not1_b32 exec_lo, exec_lo, s37
	s_cbranch_execz .LBB6_1329
.LBB6_1323:                             ;   Parent Loop BB6_51 Depth=1
                                        ;     Parent Loop BB6_1317 Depth=2
                                        ; =>    This Inner Loop Header: Depth=3
	s_sleep 1
	flat_load_b64 v[50:51], v[32:33] glc
	v_and_b32_e32 v10, 64, v30
	s_and_not1_b32 s38, s38, exec_lo
	s_mov_b32 s39, exec_lo
	s_delay_alu instid0(VALU_DEP_1)
	v_cmpx_eq_u32_e32 0, v10
	s_cbranch_execz .LBB6_1322
; %bb.1324:                             ;   in Loop: Header=BB6_1323 Depth=3
	v_add_nc_u32_e32 v10, 1, v2
	s_mov_b32 s41, -1
	s_mov_b32 s40, exec_lo
	v_cmpx_lt_i32_e32 0x270e, v2
	s_cbranch_execz .LBB6_1321
; %bb.1325:                             ;   in Loop: Header=BB6_1323 Depth=3
	s_cbranch_execnz .LBB6_1606
; %bb.1326:                             ;   in Loop: Header=BB6_1323 Depth=3
	ds_load_b64 v[10:11], v0
	s_mov_b32 s42, exec_lo
	s_waitcnt vmcnt(0) lgkmcnt(0)
	s_waitcnt_vscnt null, 0x0
	flat_load_b32 v2, v[10:11] glc
	s_waitcnt vmcnt(0) lgkmcnt(0)
	buffer_gl1_inv
	buffer_gl0_inv
	v_cmpx_ne_u32_e32 0, v2
	s_cbranch_execz .LBB6_1320
; %bb.1327:                             ;   in Loop: Header=BB6_1323 Depth=3
	ds_store_b32 v0, v2
	s_cbranch_execnz .LBB6_1684
; %bb.1328:                             ;   in Loop: Header=BB6_1323 Depth=3
	v_or_b32_e32 v30, 64, v30
	s_xor_b32 s41, exec_lo, -1
	s_branch .LBB6_1320
.LBB6_1329:                             ;   in Loop: Header=BB6_1317 Depth=2
	s_or_b32 exec_lo, exec_lo, s37
	v_and_b32_e32 v2, 4, v30
.LBB6_1330:                             ;   in Loop: Header=BB6_1317 Depth=2
	s_or_b32 exec_lo, exec_lo, s17
	s_delay_alu instid0(VALU_DEP_1)
	v_cmp_eq_u32_e32 vcc_lo, 0, v2
	;;#ASMSTART
	s_wakeup
	;;#ASMEND
	s_or_not1_b32 s17, vcc_lo, exec_lo
.LBB6_1331:                             ;   in Loop: Header=BB6_1317 Depth=2
	s_or_b32 exec_lo, exec_lo, s16
	s_xor_b32 s13, s13, -1
	s_delay_alu instid0(SALU_CYCLE_1) | instskip(NEXT) | instid1(SALU_CYCLE_1)
	s_and_b32 s13, exec_lo, s13
	s_or_b32 s15, s13, s15
	s_xor_b32 s13, s17, -1
	s_delay_alu instid0(SALU_CYCLE_1)
	s_and_saveexec_b32 s16, s13
	s_cbranch_execz .LBB6_1341
; %bb.1332:                             ;   in Loop: Header=BB6_1317 Depth=2
	v_and_b32_e32 v2, 0x100, v30
	s_mov_b32 s13, -1
                                        ; implicit-def: $vgpr8_vgpr9
	s_delay_alu instid0(VALU_DEP_1)
	v_cmp_ne_u32_e32 vcc_lo, 0, v2
	v_and_b32_e32 v2, 7, v34
	s_and_saveexec_b32 s17, vcc_lo
	s_cbranch_execz .LBB6_1336
; %bb.1333:                             ;   in Loop: Header=BB6_1317 Depth=2
	s_delay_alu instid0(VALU_DEP_1) | instskip(SKIP_4) | instid1(VALU_DEP_1)
	v_mad_u64_u32 v[10:11], null, v2, 24, v[6:7]
	flat_load_b32 v8, v[10:11]
	s_waitcnt vmcnt(0) lgkmcnt(0)
	v_cmp_ne_u32_e32 vcc_lo, 1, v8
	v_cmp_eq_u32_e64 s13, 1, v8
                                        ; implicit-def: $vgpr8_vgpr9
	s_and_saveexec_b32 s37, s13
	s_cbranch_execz .LBB6_1335
; %bb.1334:                             ;   in Loop: Header=BB6_1317 Depth=2
	flat_load_b32 v8, v[10:11] offset:4 glc
	s_waitcnt vmcnt(0) lgkmcnt(0)
	v_ashrrev_i32_e32 v9, 31, v8
.LBB6_1335:                             ;   in Loop: Header=BB6_1317 Depth=2
	s_or_b32 exec_lo, exec_lo, s37
	s_delay_alu instid0(SALU_CYCLE_1)
	s_or_not1_b32 s13, vcc_lo, exec_lo
.LBB6_1336:                             ;   in Loop: Header=BB6_1317 Depth=2
	s_or_b32 exec_lo, exec_lo, s17
	s_and_saveexec_b32 s17, s13
; %bb.1337:                             ;   in Loop: Header=BB6_1317 Depth=2
	v_mad_i64_i32 v[8:9], null, v2, v86, 0
; %bb.1338:                             ;   in Loop: Header=BB6_1317 Depth=2
	s_or_b32 exec_lo, exec_lo, s17
	s_delay_alu instid0(VALU_DEP_1) | instskip(SKIP_1) | instid1(VALU_DEP_3)
	v_add_co_u32 v8, vcc_lo, v36, v8
	v_and_b32_e32 v2, 0x2000, v30
	v_add_co_ci_u32_e32 v9, vcc_lo, v37, v9, vcc_lo
	s_mov_b32 s13, exec_lo
	ds_store_b64 v0, v[8:9] offset:720
	v_cmpx_ne_u32_e32 0, v2
	s_cbranch_execz .LBB6_1340
; %bb.1339:                             ;   in Loop: Header=BB6_1317 Depth=2
	ds_load_b64 v[8:9], v0 offset:584
	s_waitcnt lgkmcnt(0)
	v_add_co_u32 v8, vcc_lo, v8, 1
	v_add_co_ci_u32_e32 v9, vcc_lo, 0, v9, vcc_lo
	ds_store_b64 v0, v[8:9] offset:584
.LBB6_1340:                             ;   in Loop: Header=BB6_1317 Depth=2
	s_or_b32 exec_lo, exec_lo, s13
	v_add_co_u32 v34, vcc_lo, v34, 2
	v_add_co_ci_u32_e32 v35, vcc_lo, 0, v35, vcc_lo
.LBB6_1341:                             ;   in Loop: Header=BB6_1317 Depth=2
	s_or_b32 exec_lo, exec_lo, s16
	s_and_saveexec_b32 s13, s3
	s_cbranch_execz .LBB6_1363
; %bb.1342:                             ;   in Loop: Header=BB6_1317 Depth=2
	s_and_saveexec_b32 s16, s4
	s_delay_alu instid0(SALU_CYCLE_1)
	s_xor_b32 s16, exec_lo, s16
	s_cbranch_execz .LBB6_1360
; %bb.1343:                             ;   in Loop: Header=BB6_1317 Depth=2
	s_and_saveexec_b32 s17, s1
	s_cbranch_execz .LBB6_1359
; %bb.1344:                             ;   in Loop: Header=BB6_1317 Depth=2
	s_mov_b32 s38, exec_lo
	s_mov_b32 s37, exec_lo
	v_mbcnt_lo_u32_b32 v2, s38, 0
	s_waitcnt lgkmcnt(0)
	s_waitcnt_vscnt null, 0x0
	buffer_gl1_inv
	buffer_gl0_inv
	v_cmpx_eq_u32_e32 0, v2
	s_cbranch_execz .LBB6_1346
; %bb.1345:                             ;   in Loop: Header=BB6_1317 Depth=2
	s_bcnt1_i32_b32 vcc_lo, s38
	s_delay_alu instid0(SALU_CYCLE_1)
	v_mov_b32_e32 v2, vcc_lo
	ds_add_u64 v0, v[2:3]
	s_cbranch_execnz .LBB6_1718
.LBB6_1346:                             ;   in Loop: Header=BB6_1317 Depth=2
	s_or_b32 exec_lo, exec_lo, s37
	s_cbranch_execnz .LBB6_1696
; %bb.1347:                             ;   in Loop: Header=BB6_1317 Depth=2
	ds_load_b64 v[8:9], v0
	v_add_co_u32 v48, vcc_lo, v48, v97
	v_add_co_ci_u32_e32 v49, vcc_lo, 0, v49, vcc_lo
	s_mov_b32 s37, exec_lo
	s_waitcnt lgkmcnt(0)
	s_delay_alu instid0(VALU_DEP_1)
	v_cmpx_lt_u64_e64 v[8:9], v[48:49]
	s_cbranch_execz .LBB6_1358
; %bb.1348:                             ;   in Loop: Header=BB6_1317 Depth=2
	s_mov_b32 s38, 0
	s_mov_b32 s41, 0
                                        ; implicit-def: $sgpr39
                                        ; implicit-def: $sgpr40
	s_branch .LBB6_1350
.LBB6_1349:                             ;   in Loop: Header=BB6_1350 Depth=3
	s_or_b32 exec_lo, exec_lo, s43
	s_delay_alu instid0(SALU_CYCLE_1) | instskip(NEXT) | instid1(SALU_CYCLE_1)
	s_and_b32 vcc_lo, exec_lo, vcc_lo
	s_or_b32 s38, vcc_lo, s38
	s_and_not1_b32 vcc_lo, s39, exec_lo
	s_and_b32 s39, s40, exec_lo
	s_delay_alu instid0(SALU_CYCLE_1)
	s_or_b32 s39, vcc_lo, s39
	s_and_not1_b32 exec_lo, exec_lo, s38
	s_cbranch_execz .LBB6_1356
.LBB6_1350:                             ;   Parent Loop BB6_51 Depth=1
                                        ;     Parent Loop BB6_1317 Depth=2
                                        ; =>    This Inner Loop Header: Depth=3
	s_add_i32 s41, s41, 1
                                        ; implicit-def: $sgpr43
	s_delay_alu instid0(SALU_CYCLE_1) | instskip(SKIP_1) | instid1(SALU_CYCLE_1)
	s_cmpk_lg_i32 s41, 0x2710
	s_cselect_b32 s42, -1, 0
	s_and_b32 vcc_lo, exec_lo, s42
	s_cbranch_vccz .LBB6_1354
.LBB6_1351:                             ;   in Loop: Header=BB6_1350 Depth=3
	s_and_not1_b32 s40, s40, exec_lo
	s_and_b32 s43, s43, exec_lo
	s_mov_b32 vcc_lo, -1
	s_or_b32 s40, s40, s43
	s_and_saveexec_b32 s43, s42
	s_cbranch_execz .LBB6_1349
; %bb.1352:                             ;   in Loop: Header=BB6_1350 Depth=3
	s_sleep 1
	s_cbranch_execnz .LBB6_1770
; %bb.1353:                             ;   in Loop: Header=BB6_1350 Depth=3
	ds_load_b64 v[8:9], v0
	s_and_not1_b32 s40, s40, exec_lo
	s_waitcnt lgkmcnt(0)
	v_cmp_ge_u64_e32 vcc_lo, v[8:9], v[48:49]
	s_or_not1_b32 vcc_lo, vcc_lo, exec_lo
	s_branch .LBB6_1349
.LBB6_1354:                             ;   in Loop: Header=BB6_1350 Depth=3
	s_cbranch_execnz .LBB6_1790
; %bb.1355:                             ;   in Loop: Header=BB6_1350 Depth=3
	ds_load_b64 v[8:9], v0
	s_and_not1_b32 s42, s42, exec_lo
	s_mov_b32 s41, 0
	s_mov_b32 s43, -1
	s_waitcnt lgkmcnt(0)
	flat_load_b32 v2, v[8:9] glc
	s_waitcnt vmcnt(0) lgkmcnt(0)
	buffer_gl1_inv
	buffer_gl0_inv
	v_cmp_eq_u32_e32 vcc_lo, 0, v2
	s_and_b32 vcc_lo, vcc_lo, exec_lo
	s_delay_alu instid0(SALU_CYCLE_1)
	s_or_b32 s42, s42, vcc_lo
	s_branch .LBB6_1351
.LBB6_1356:                             ;   in Loop: Header=BB6_1317 Depth=2
	s_or_b32 exec_lo, exec_lo, s38
	s_and_saveexec_b32 vcc_lo, s39
	s_delay_alu instid0(SALU_CYCLE_1)
	s_xor_b32 vcc_lo, exec_lo, vcc_lo
	s_cbranch_execz .LBB6_1358
; %bb.1357:                             ;   in Loop: Header=BB6_1317 Depth=2
	ds_store_b32 v0, v144
	s_cbranch_execnz .LBB6_1912
.LBB6_1358:                             ;   in Loop: Header=BB6_1317 Depth=2
	s_or_b32 exec_lo, exec_lo, s37
	;;#ASMSTART
	s_wakeup
	;;#ASMEND
.LBB6_1359:                             ;   in Loop: Header=BB6_1317 Depth=2
	s_or_b32 exec_lo, exec_lo, s17
.LBB6_1360:                             ;   in Loop: Header=BB6_1317 Depth=2
	s_and_not1_saveexec_b32 s16, s16
	s_cbranch_execz .LBB6_1362
; %bb.1361:                             ;   in Loop: Header=BB6_1317 Depth=2
	s_waitcnt lgkmcnt(0)
	s_waitcnt_vscnt null, 0x0
	buffer_gl1_inv
	buffer_gl0_inv
	s_barrier
.LBB6_1362:                             ;   in Loop: Header=BB6_1317 Depth=2
	s_or_b32 exec_lo, exec_lo, s16
.LBB6_1363:                             ;   in Loop: Header=BB6_1317 Depth=2
	s_delay_alu instid0(SALU_CYCLE_1) | instskip(SKIP_1) | instid1(VALU_DEP_1)
	s_or_b32 exec_lo, exec_lo, s13
	v_sub_nc_u32_e32 v2, v12, v14
	v_min_i32_e32 v13, v13, v2
	s_and_saveexec_b32 s13, s7
	s_delay_alu instid0(SALU_CYCLE_1)
	s_xor_b32 s16, exec_lo, s13
	s_cbranch_execz .LBB6_1368
; %bb.1364:                             ;   in Loop: Header=BB6_1317 Depth=2
	s_cbranch_execnz .LBB6_1602
; %bb.1365:                             ;   in Loop: Header=BB6_1317 Depth=2
	ds_load_b32 v2, v0
	v_cmp_lt_i32_e32 vcc_lo, 0, v13
	s_waitcnt lgkmcnt(0)
	v_readfirstlane_b32 s13, v2
	v_and_b32_e32 v2, 16, v30
	s_delay_alu instid0(VALU_DEP_2) | instskip(NEXT) | instid1(VALU_DEP_1)
	s_cmp_eq_u32 s13, 0
	v_cmp_ne_u32_e64 s13, 0, v2
	s_cselect_b32 s17, -1, 0
	s_delay_alu instid0(SALU_CYCLE_1)
	s_and_b32 s17, vcc_lo, s17
	s_delay_alu instid0(VALU_DEP_1) | instid1(SALU_CYCLE_1)
	s_and_b32 s17, s13, s17
	s_delay_alu instid0(SALU_CYCLE_1)
	s_and_saveexec_b32 s13, s17
	s_cbranch_execz .LBB6_1367
; %bb.1366:                             ;   in Loop: Header=BB6_1317 Depth=2
	s_waitcnt_vscnt null, 0x0
	buffer_gl1_inv
	buffer_gl0_inv
.LBB6_1367:                             ;   in Loop: Header=BB6_1317 Depth=2
	s_or_b32 exec_lo, exec_lo, s13
.LBB6_1368:                             ;   in Loop: Header=BB6_1317 Depth=2
	s_and_not1_saveexec_b32 s13, s16
	s_cbranch_execz .LBB6_1390
; %bb.1369:                             ;   in Loop: Header=BB6_1317 Depth=2
	s_and_saveexec_b32 s16, s4
	s_delay_alu instid0(SALU_CYCLE_1)
	s_xor_b32 s16, exec_lo, s16
	s_cbranch_execz .LBB6_1387
; %bb.1370:                             ;   in Loop: Header=BB6_1317 Depth=2
	s_and_saveexec_b32 s17, s1
	s_cbranch_execz .LBB6_1386
; %bb.1371:                             ;   in Loop: Header=BB6_1317 Depth=2
	s_mov_b32 s38, exec_lo
	s_mov_b32 s37, exec_lo
	v_mbcnt_lo_u32_b32 v2, s38, 0
	;;#ASMSTART
	s_waitcnt lgkmcnt(0) vmcnt(0)
	;;#ASMEND
	s_delay_alu instid0(VALU_DEP_1)
	v_cmpx_eq_u32_e32 0, v2
	s_cbranch_execz .LBB6_1373
; %bb.1372:                             ;   in Loop: Header=BB6_1317 Depth=2
	s_bcnt1_i32_b32 vcc_lo, s38
	s_delay_alu instid0(SALU_CYCLE_1)
	v_mov_b32_e32 v2, vcc_lo
	ds_add_u64 v0, v[2:3]
	s_cbranch_execnz .LBB6_1744
.LBB6_1373:                             ;   in Loop: Header=BB6_1317 Depth=2
	s_or_b32 exec_lo, exec_lo, s37
	s_cbranch_execnz .LBB6_1716
; %bb.1374:                             ;   in Loop: Header=BB6_1317 Depth=2
	ds_load_b64 v[8:9], v0
	v_add_co_u32 v48, vcc_lo, v48, v97
	v_add_co_ci_u32_e32 v49, vcc_lo, 0, v49, vcc_lo
	s_mov_b32 s37, exec_lo
	s_waitcnt lgkmcnt(0)
	s_delay_alu instid0(VALU_DEP_1)
	v_cmpx_lt_u64_e64 v[8:9], v[48:49]
	s_cbranch_execz .LBB6_1385
; %bb.1375:                             ;   in Loop: Header=BB6_1317 Depth=2
	s_mov_b32 s38, 0
	s_mov_b32 s41, 0
                                        ; implicit-def: $sgpr39
                                        ; implicit-def: $sgpr40
	s_branch .LBB6_1377
.LBB6_1376:                             ;   in Loop: Header=BB6_1377 Depth=3
	s_or_b32 exec_lo, exec_lo, s43
	s_delay_alu instid0(SALU_CYCLE_1) | instskip(NEXT) | instid1(SALU_CYCLE_1)
	s_and_b32 vcc_lo, exec_lo, vcc_lo
	s_or_b32 s38, vcc_lo, s38
	s_and_not1_b32 vcc_lo, s39, exec_lo
	s_and_b32 s39, s40, exec_lo
	s_delay_alu instid0(SALU_CYCLE_1)
	s_or_b32 s39, vcc_lo, s39
	s_and_not1_b32 exec_lo, exec_lo, s38
	s_cbranch_execz .LBB6_1383
.LBB6_1377:                             ;   Parent Loop BB6_51 Depth=1
                                        ;     Parent Loop BB6_1317 Depth=2
                                        ; =>    This Inner Loop Header: Depth=3
	s_add_i32 s41, s41, 1
                                        ; implicit-def: $sgpr43
	s_delay_alu instid0(SALU_CYCLE_1) | instskip(SKIP_1) | instid1(SALU_CYCLE_1)
	s_cmpk_lg_i32 s41, 0x2710
	s_cselect_b32 s42, -1, 0
	s_and_b32 vcc_lo, exec_lo, s42
	s_cbranch_vccz .LBB6_1381
.LBB6_1378:                             ;   in Loop: Header=BB6_1377 Depth=3
	s_and_not1_b32 s40, s40, exec_lo
	s_and_b32 s43, s43, exec_lo
	s_mov_b32 vcc_lo, -1
	s_or_b32 s40, s40, s43
	s_and_saveexec_b32 s43, s42
	s_cbranch_execz .LBB6_1376
; %bb.1379:                             ;   in Loop: Header=BB6_1377 Depth=3
	s_sleep 1
	s_cbranch_execnz .LBB6_1796
; %bb.1380:                             ;   in Loop: Header=BB6_1377 Depth=3
	ds_load_b64 v[8:9], v0
	s_and_not1_b32 s40, s40, exec_lo
	s_waitcnt lgkmcnt(0)
	v_cmp_ge_u64_e32 vcc_lo, v[8:9], v[48:49]
	s_or_not1_b32 vcc_lo, vcc_lo, exec_lo
	s_branch .LBB6_1376
.LBB6_1381:                             ;   in Loop: Header=BB6_1377 Depth=3
	s_cbranch_execnz .LBB6_1816
; %bb.1382:                             ;   in Loop: Header=BB6_1377 Depth=3
	ds_load_b64 v[8:9], v0
	s_and_not1_b32 s42, s42, exec_lo
	s_mov_b32 s41, 0
	s_mov_b32 s43, -1
	s_waitcnt lgkmcnt(0)
	s_waitcnt_vscnt null, 0x0
	flat_load_b32 v2, v[8:9] glc
	s_waitcnt vmcnt(0) lgkmcnt(0)
	buffer_gl1_inv
	buffer_gl0_inv
	v_cmp_eq_u32_e32 vcc_lo, 0, v2
	s_and_b32 vcc_lo, vcc_lo, exec_lo
	s_delay_alu instid0(SALU_CYCLE_1)
	s_or_b32 s42, s42, vcc_lo
	s_branch .LBB6_1378
.LBB6_1383:                             ;   in Loop: Header=BB6_1317 Depth=2
	s_or_b32 exec_lo, exec_lo, s38
	s_and_saveexec_b32 vcc_lo, s39
	s_delay_alu instid0(SALU_CYCLE_1)
	s_xor_b32 vcc_lo, exec_lo, vcc_lo
	s_cbranch_execz .LBB6_1385
; %bb.1384:                             ;   in Loop: Header=BB6_1317 Depth=2
	ds_store_b32 v0, v144
	s_cbranch_execnz .LBB6_1920
.LBB6_1385:                             ;   in Loop: Header=BB6_1317 Depth=2
	s_or_b32 exec_lo, exec_lo, s37
	;;#ASMSTART
	s_wakeup
	;;#ASMEND
.LBB6_1386:                             ;   in Loop: Header=BB6_1317 Depth=2
	s_or_b32 exec_lo, exec_lo, s17
.LBB6_1387:                             ;   in Loop: Header=BB6_1317 Depth=2
	s_and_not1_saveexec_b32 s16, s16
	s_cbranch_execz .LBB6_1389
; %bb.1388:                             ;   in Loop: Header=BB6_1317 Depth=2
	;;#ASMSTART
	s_waitcnt lgkmcnt(0) vmcnt(0)
	;;#ASMEND
	s_waitcnt lgkmcnt(0)
	s_waitcnt_vscnt null, 0x0
	s_barrier
.LBB6_1389:                             ;   in Loop: Header=BB6_1317 Depth=2
	s_or_b32 exec_lo, exec_lo, s16
.LBB6_1390:                             ;   in Loop: Header=BB6_1317 Depth=2
	s_delay_alu instid0(SALU_CYCLE_1) | instskip(SKIP_2) | instid1(VALU_DEP_1)
	s_or_b32 exec_lo, exec_lo, s13
	v_and_b32_e32 v2, 32, v30
	s_mov_b32 s13, exec_lo
	v_cmpx_ne_u32_e32 0, v2
	s_cbranch_execz .LBB6_1392
; %bb.1391:                             ;   in Loop: Header=BB6_1317 Depth=2
	v_add_co_u32 v34, vcc_lo, v34, 2
	v_add_co_ci_u32_e32 v35, vcc_lo, 0, v35, vcc_lo
	s_waitcnt lgkmcnt(0)
	s_waitcnt_vscnt null, 0x0
	flat_store_b64 v[32:33], v[34:35]
.LBB6_1392:                             ;   in Loop: Header=BB6_1317 Depth=2
	s_or_b32 exec_lo, exec_lo, s13
	v_add_nc_u32_e32 v14, v13, v14
	s_mov_b32 s13, 0
	s_and_not1_b32 exec_lo, exec_lo, s15
	s_cbranch_execnz .LBB6_1317
; %bb.1393:                             ;   in Loop: Header=BB6_51 Depth=1
	s_or_b32 exec_lo, exec_lo, s15
.LBB6_1394:                             ;   in Loop: Header=BB6_51 Depth=1
	s_delay_alu instid0(SALU_CYCLE_1)
	s_or_b32 exec_lo, exec_lo, s14
	v_add_co_u32 v54, vcc_lo, v54, v52
	v_add_co_ci_u32_e32 v55, vcc_lo, v55, v53, vcc_lo
	s_mov_b32 s39, s21
	s_mov_b32 s21, s18
	;; [unrolled: 1-line block ×3, first 2 shown]
	s_delay_alu instid0(VALU_DEP_1)
	v_cmp_ge_i64_e32 vcc_lo, v[54:55], v[4:5]
	s_mov_b32 s24, s19
	s_mov_b32 s42, s31
	s_mov_b32 s43, s28
	s_mov_b32 s28, s29
	s_mov_b32 s29, s25
	s_or_b32 s41, vcc_lo, s36
	s_mov_b32 s44, s35
	s_mov_b32 s31, s34
	;; [unrolled: 1-line block ×3, first 2 shown]
	s_mov_b32 s35, vcc_hi
	s_mov_b32 s36, s22
	s_mov_b32 s37, s27
	;; [unrolled: 1-line block ×3, first 2 shown]
	s_and_not1_b32 exec_lo, exec_lo, s41
	s_cbranch_execnz .LBB6_51
; %bb.1395:
	s_or_b32 exec_lo, exec_lo, s41
.LBB6_1396:
	s_delay_alu instid0(SALU_CYCLE_1)
	s_or_b32 exec_lo, exec_lo, s39
; %bb.1397:
	v_and_b32_e32 v0, 0x800, v30
	s_mov_b32 s0, exec_lo
	s_delay_alu instid0(VALU_DEP_1)
	v_cmpx_eq_u32_e32 0, v0
	s_cbranch_execz .LBB6_1652
; %bb.1398:
	v_and_b32_e32 v0, 48, v30
	s_mov_b32 s1, exec_lo
	s_delay_alu instid0(VALU_DEP_1)
	v_cmpx_ne_u32_e32 0, v0
	s_cbranch_execz .LBB6_1400
; %bb.1399:
	flat_store_b64 v[28:29], v[34:35] offset:104
.LBB6_1400:
	s_or_b32 exec_lo, exec_lo, s1
	v_and_b32_e32 v0, 0x88, v30
	s_mov_b32 s1, exec_lo
	s_delay_alu instid0(VALU_DEP_1)
	v_cmpx_eq_u32_e32 0x88, v0
	s_cbranch_execz .LBB6_1450
; %bb.1401:
	v_add_nc_u32_e32 v0, 6, v34
	s_mov_b32 s2, 0
                                        ; implicit-def: $sgpr3
	s_delay_alu instid0(VALU_DEP_1) | instskip(NEXT) | instid1(VALU_DEP_1)
	v_and_b32_e32 v0, 7, v0
	v_mad_u64_u32 v[2:3], null, v0, 24, v[6:7]
	v_mov_b32_e32 v0, 0
	s_delay_alu instid0(VALU_DEP_2) | instskip(NEXT) | instid1(VALU_DEP_3)
	v_add_co_u32 v2, vcc_lo, v2, 8
	v_add_co_ci_u32_e32 v3, vcc_lo, 0, v3, vcc_lo
	s_branch .LBB6_1436
.LBB6_1402:
	s_trap 2
	s_sendmsg_rtn_b32 s0, sendmsg(MSG_RTN_GET_DOORBELL)
	s_mov_b32 ttmp2, m0
	s_waitcnt lgkmcnt(0)
	s_and_b32 s0, s0, 0x3ff
	s_delay_alu instid0(SALU_CYCLE_1) | instskip(NEXT) | instid1(SALU_CYCLE_1)
	s_bitset1_b32 s0, 10
	s_mov_b32 m0, s0
	s_sendmsg sendmsg(MSG_INTERRUPT)
	s_mov_b32 m0, ttmp2
.LBB6_1403:                             ; =>This Inner Loop Header: Depth=1
	s_sethalt 5
	s_branch .LBB6_1403
.LBB6_1404:
	v_bfe_u32 v9, v7, 8, 8
	v_not_b32_e32 v8, v8
	s_mov_b32 s1, exec_lo
                                        ; implicit-def: $vgpr14_vgpr15
                                        ; implicit-def: $vgpr24_vgpr25
                                        ; implicit-def: $vgpr4_vgpr5
	s_delay_alu instid0(VALU_DEP_2)
	v_cmpx_ne_u32_e64 v9, v6
	s_xor_b32 s1, exec_lo, s1
	s_cbranch_execz .LBB6_1406
; %bb.1405:
	s_clause 0x1
	flat_load_b128 v[9:12], v[2:3] offset:72
	flat_load_b64 v[4:5], v[2:3] offset:96
	v_add_nc_u32_e32 v6, v6, v8
                                        ; implicit-def: $vgpr8
	s_waitcnt vmcnt(0) lgkmcnt(0)
	v_lshrrev_b64 v[14:15], 12, v[4:5]
	v_dual_mov_b32 v4, v11 :: v_dual_mov_b32 v5, v12
	s_delay_alu instid0(VALU_DEP_3) | instskip(SKIP_2) | instid1(VALU_DEP_3)
	v_ashrrev_i32_e32 v7, 31, v6
	v_mad_u64_u32 v[24:25], null, v11, v6, v[9:10]
	v_mul_lo_u32 v6, v12, v6
                                        ; implicit-def: $vgpr9
	v_mul_lo_u32 v7, v11, v7
	s_delay_alu instid0(VALU_DEP_1)
	v_add3_u32 v25, v6, v25, v7
.LBB6_1406:
	s_and_not1_saveexec_b32 s1, s1
	s_cbranch_execz .LBB6_1408
; %bb.1407:
	s_clause 0x1
	flat_load_b128 v[10:13], v[2:3] offset:72
	flat_load_b128 v[4:7], v[2:3] offset:88
	s_waitcnt vmcnt(0) lgkmcnt(0)
	v_add_nc_u32_e32 v6, v9, v8
	s_delay_alu instid0(VALU_DEP_1) | instskip(NEXT) | instid1(VALU_DEP_1)
	v_ashrrev_i32_e32 v8, 31, v6
	v_mul_lo_u32 v8, v12, v8
	v_mad_u64_u32 v[24:25], null, v12, v6, v[10:11]
	v_mul_lo_u32 v6, v13, v6
	v_lshrrev_b32_e32 v14, 1, v7
	s_delay_alu instid0(VALU_DEP_2)
	v_add3_u32 v25, v6, v25, v8
.LBB6_1408:
	s_or_b32 exec_lo, exec_lo, s1
	s_and_not1_saveexec_b32 s0, s0
	s_cbranch_execz .LBB6_3
.LBB6_1409:
	s_clause 0x1
	flat_load_b64 v[6:7], v[2:3] offset:96
	flat_load_b64 v[4:5], v[2:3] offset:72
	v_mov_b32_e32 v24, 0
	v_mov_b32_e32 v25, 0
	s_waitcnt vmcnt(1) lgkmcnt(1)
	v_lshlrev_b64 v[14:15], 9, v[6:7]
	s_or_b32 exec_lo, exec_lo, s0
	s_cbranch_execz .LBB6_4
.LBB6_1410:
	s_trap 2
	s_sendmsg_rtn_b32 s0, sendmsg(MSG_RTN_GET_DOORBELL)
	s_mov_b32 ttmp2, m0
	s_waitcnt lgkmcnt(0)
	s_and_b32 s0, s0, 0x3ff
	s_delay_alu instid0(SALU_CYCLE_1) | instskip(NEXT) | instid1(SALU_CYCLE_1)
	s_bitset1_b32 s0, 10
	s_mov_b32 m0, s0
	s_sendmsg sendmsg(MSG_INTERRUPT)
	s_mov_b32 m0, ttmp2
.LBB6_1411:                             ; =>This Inner Loop Header: Depth=1
	s_sethalt 5
	s_branch .LBB6_1411
.LBB6_1412:
	s_trap 2
	s_sendmsg_rtn_b32 s0, sendmsg(MSG_RTN_GET_DOORBELL)
	s_mov_b32 ttmp2, m0
	s_waitcnt lgkmcnt(0)
	s_and_b32 s0, s0, 0x3ff
	s_delay_alu instid0(SALU_CYCLE_1) | instskip(NEXT) | instid1(SALU_CYCLE_1)
	s_bitset1_b32 s0, 10
	s_mov_b32 m0, s0
	s_sendmsg sendmsg(MSG_INTERRUPT)
	s_mov_b32 m0, ttmp2
.LBB6_1413:                             ; =>This Inner Loop Header: Depth=1
	s_sethalt 5
	s_branch .LBB6_1413
.LBB6_1414:
	s_trap 2
	s_sendmsg_rtn_b32 s0, sendmsg(MSG_RTN_GET_DOORBELL)
	s_mov_b32 ttmp2, m0
	s_waitcnt lgkmcnt(0)
	s_and_b32 s0, s0, 0x3ff
	s_delay_alu instid0(SALU_CYCLE_1) | instskip(NEXT) | instid1(SALU_CYCLE_1)
	s_bitset1_b32 s0, 10
	s_mov_b32 m0, s0
	s_sendmsg sendmsg(MSG_INTERRUPT)
	s_mov_b32 m0, ttmp2
.LBB6_1415:                             ; =>This Inner Loop Header: Depth=1
	s_sethalt 5
	s_branch .LBB6_1415
.LBB6_1416:
	s_trap 2
	s_sendmsg_rtn_b32 s0, sendmsg(MSG_RTN_GET_DOORBELL)
	s_mov_b32 ttmp2, m0
	s_waitcnt lgkmcnt(0)
	s_and_b32 s0, s0, 0x3ff
	s_delay_alu instid0(SALU_CYCLE_1) | instskip(NEXT) | instid1(SALU_CYCLE_1)
	s_bitset1_b32 s0, 10
	s_mov_b32 m0, s0
	s_sendmsg sendmsg(MSG_INTERRUPT)
	s_mov_b32 m0, ttmp2
.LBB6_1417:                             ; =>This Inner Loop Header: Depth=1
	s_sethalt 5
	s_branch .LBB6_1417
.LBB6_1418:
	s_trap 2
	s_sendmsg_rtn_b32 s0, sendmsg(MSG_RTN_GET_DOORBELL)
	s_mov_b32 ttmp2, m0
	s_waitcnt lgkmcnt(0)
	s_and_b32 s0, s0, 0x3ff
	s_delay_alu instid0(SALU_CYCLE_1) | instskip(NEXT) | instid1(SALU_CYCLE_1)
	s_bitset1_b32 s0, 10
	s_mov_b32 m0, s0
	s_sendmsg sendmsg(MSG_INTERRUPT)
	s_mov_b32 m0, ttmp2
.LBB6_1419:                             ; =>This Inner Loop Header: Depth=1
	s_sethalt 5
	s_branch .LBB6_1419
.LBB6_1420:
	s_trap 2
	s_sendmsg_rtn_b32 s0, sendmsg(MSG_RTN_GET_DOORBELL)
	s_mov_b32 ttmp2, m0
	s_waitcnt lgkmcnt(0)
	s_and_b32 s0, s0, 0x3ff
	s_delay_alu instid0(SALU_CYCLE_1) | instskip(NEXT) | instid1(SALU_CYCLE_1)
	s_bitset1_b32 s0, 10
	s_mov_b32 m0, s0
	s_sendmsg sendmsg(MSG_INTERRUPT)
	s_mov_b32 m0, ttmp2
.LBB6_1421:                             ; =>This Inner Loop Header: Depth=1
	s_sethalt 5
	s_branch .LBB6_1421
.LBB6_1422:
	s_trap 2
	s_sendmsg_rtn_b32 s0, sendmsg(MSG_RTN_GET_DOORBELL)
	s_mov_b32 ttmp2, m0
	s_waitcnt lgkmcnt(0)
	s_and_b32 s0, s0, 0x3ff
	s_delay_alu instid0(SALU_CYCLE_1) | instskip(NEXT) | instid1(SALU_CYCLE_1)
	s_bitset1_b32 s0, 10
	s_mov_b32 m0, s0
	s_sendmsg sendmsg(MSG_INTERRUPT)
	s_mov_b32 m0, ttmp2
.LBB6_1423:                             ; =>This Inner Loop Header: Depth=1
	s_sethalt 5
	s_branch .LBB6_1423
.LBB6_1424:
	s_trap 2
	s_sendmsg_rtn_b32 s0, sendmsg(MSG_RTN_GET_DOORBELL)
	s_mov_b32 ttmp2, m0
	s_waitcnt lgkmcnt(0)
	s_and_b32 s0, s0, 0x3ff
	s_delay_alu instid0(SALU_CYCLE_1) | instskip(NEXT) | instid1(SALU_CYCLE_1)
	s_bitset1_b32 s0, 10
	s_mov_b32 m0, s0
	s_sendmsg sendmsg(MSG_INTERRUPT)
	s_mov_b32 m0, ttmp2
.LBB6_1425:                             ; =>This Inner Loop Header: Depth=1
	s_sethalt 5
	s_branch .LBB6_1425
.LBB6_1426:
	s_trap 2
	s_sendmsg_rtn_b32 s0, sendmsg(MSG_RTN_GET_DOORBELL)
	s_mov_b32 ttmp2, m0
	s_waitcnt lgkmcnt(0)
	s_and_b32 s0, s0, 0x3ff
	s_delay_alu instid0(SALU_CYCLE_1) | instskip(NEXT) | instid1(SALU_CYCLE_1)
	s_bitset1_b32 s0, 10
	s_mov_b32 m0, s0
	s_sendmsg sendmsg(MSG_INTERRUPT)
	s_mov_b32 m0, ttmp2
.LBB6_1427:                             ; =>This Inner Loop Header: Depth=1
	s_sethalt 5
	s_branch .LBB6_1427
.LBB6_1428:
	s_trap 2
	s_sendmsg_rtn_b32 s0, sendmsg(MSG_RTN_GET_DOORBELL)
	s_mov_b32 ttmp2, m0
	s_waitcnt lgkmcnt(0)
	s_and_b32 s0, s0, 0x3ff
	s_delay_alu instid0(SALU_CYCLE_1) | instskip(NEXT) | instid1(SALU_CYCLE_1)
	s_bitset1_b32 s0, 10
	s_mov_b32 m0, s0
	s_sendmsg sendmsg(MSG_INTERRUPT)
	s_mov_b32 m0, ttmp2
.LBB6_1429:                             ; =>This Inner Loop Header: Depth=1
	s_sethalt 5
	s_branch .LBB6_1429
.LBB6_1430:
	s_trap 2
	s_sendmsg_rtn_b32 s0, sendmsg(MSG_RTN_GET_DOORBELL)
	s_mov_b32 ttmp2, m0
	s_waitcnt lgkmcnt(0)
	s_and_b32 s0, s0, 0x3ff
	s_delay_alu instid0(SALU_CYCLE_1) | instskip(NEXT) | instid1(SALU_CYCLE_1)
	s_bitset1_b32 s0, 10
	s_mov_b32 m0, s0
	s_sendmsg sendmsg(MSG_INTERRUPT)
	s_mov_b32 m0, ttmp2
.LBB6_1431:                             ; =>This Inner Loop Header: Depth=1
	s_sethalt 5
	s_branch .LBB6_1431
.LBB6_1432:                             ;   in Loop: Header=BB6_1436 Depth=1
	s_or_b32 exec_lo, exec_lo, s10
	v_mov_b32_e32 v4, 0
	s_or_not1_b32 s7, s7, exec_lo
.LBB6_1433:                             ;   in Loop: Header=BB6_1436 Depth=1
	s_or_b32 exec_lo, exec_lo, s6
	s_delay_alu instid0(VALU_DEP_1)
	v_mov_b32_e32 v0, v4
	s_and_b32 s6, s7, exec_lo
.LBB6_1434:                             ;   in Loop: Header=BB6_1436 Depth=1
	s_or_b32 exec_lo, exec_lo, s5
	s_xor_b32 s5, s6, -1
	s_and_not1_b32 s3, s3, exec_lo
	s_and_b32 s5, s5, exec_lo
	s_delay_alu instid0(SALU_CYCLE_1)
	s_or_b32 s3, s3, s5
.LBB6_1435:                             ;   in Loop: Header=BB6_1436 Depth=1
	s_or_b32 exec_lo, exec_lo, s4
	s_delay_alu instid0(SALU_CYCLE_1) | instskip(NEXT) | instid1(SALU_CYCLE_1)
	s_and_b32 s4, exec_lo, s3
	s_or_b32 s2, s4, s2
	s_delay_alu instid0(SALU_CYCLE_1)
	s_and_not1_b32 exec_lo, exec_lo, s2
	s_cbranch_execz .LBB6_1449
.LBB6_1436:                             ; =>This Inner Loop Header: Depth=1
	flat_load_b64 v[4:5], v[2:3] glc dlc
	s_waitcnt vmcnt(0)
	s_or_b32 s3, s3, exec_lo
	s_mov_b32 s4, exec_lo
	s_waitcnt lgkmcnt(0)
	v_cmpx_ne_u64_e32 -1, v[4:5]
	s_cbranch_execz .LBB6_1435
; %bb.1437:                             ;   in Loop: Header=BB6_1436 Depth=1
	v_and_b32_e32 v4, 64, v30
	s_mov_b32 s6, 0
	s_mov_b32 s5, exec_lo
	s_delay_alu instid0(VALU_DEP_1)
	v_cmpx_eq_u32_e32 0, v4
	s_cbranch_execz .LBB6_1434
; %bb.1438:                             ;   in Loop: Header=BB6_1436 Depth=1
	v_add_nc_u32_e32 v4, 1, v0
	s_mov_b32 s7, -1
	s_mov_b32 s6, exec_lo
	v_cmpx_lt_i32_e32 0x270e, v0
	s_cbranch_execz .LBB6_1433
; %bb.1439:                             ;   in Loop: Header=BB6_1436 Depth=1
	s_cbranch_execnz .LBB6_1443
; %bb.1440:                             ;   in Loop: Header=BB6_1436 Depth=1
	ds_load_b64 v[4:5], v0
	s_mov_b32 s10, exec_lo
	s_waitcnt lgkmcnt(0)
	s_waitcnt_vscnt null, 0x0
	flat_load_b32 v0, v[4:5] glc
	s_waitcnt vmcnt(0) lgkmcnt(0)
	buffer_gl1_inv
	buffer_gl0_inv
	v_cmpx_ne_u32_e32 0, v0
	s_cbranch_execz .LBB6_1432
; %bb.1441:                             ;   in Loop: Header=BB6_1436 Depth=1
	ds_store_b32 v0, v0
	s_cbranch_execnz .LBB6_1467
; %bb.1442:                             ;   in Loop: Header=BB6_1436 Depth=1
	v_or_b32_e32 v30, 64, v30
	s_xor_b32 s7, exec_lo, -1
	s_branch .LBB6_1432
.LBB6_1443:
	s_trap 2
	s_sendmsg_rtn_b32 s0, sendmsg(MSG_RTN_GET_DOORBELL)
	s_mov_b32 ttmp2, m0
	s_waitcnt lgkmcnt(0)
	s_and_b32 s0, s0, 0x3ff
	s_delay_alu instid0(SALU_CYCLE_1) | instskip(NEXT) | instid1(SALU_CYCLE_1)
	s_bitset1_b32 s0, 10
	s_mov_b32 m0, s0
	s_sendmsg sendmsg(MSG_INTERRUPT)
	s_mov_b32 m0, ttmp2
.LBB6_1444:                             ; =>This Inner Loop Header: Depth=1
	s_sethalt 5
	s_branch .LBB6_1444
.LBB6_1445:
	s_trap 2
	s_sendmsg_rtn_b32 s0, sendmsg(MSG_RTN_GET_DOORBELL)
	s_mov_b32 ttmp2, m0
	s_waitcnt lgkmcnt(0)
	s_and_b32 s0, s0, 0x3ff
	s_delay_alu instid0(SALU_CYCLE_1) | instskip(NEXT) | instid1(SALU_CYCLE_1)
	s_bitset1_b32 s0, 10
	s_mov_b32 m0, s0
	s_sendmsg sendmsg(MSG_INTERRUPT)
	s_mov_b32 m0, ttmp2
.LBB6_1446:                             ; =>This Inner Loop Header: Depth=1
	s_sethalt 5
	s_branch .LBB6_1446
.LBB6_1447:
	s_trap 2
	s_sendmsg_rtn_b32 s0, sendmsg(MSG_RTN_GET_DOORBELL)
	s_mov_b32 ttmp2, m0
	s_waitcnt lgkmcnt(0)
	s_and_b32 s0, s0, 0x3ff
	s_delay_alu instid0(SALU_CYCLE_1) | instskip(NEXT) | instid1(SALU_CYCLE_1)
	s_bitset1_b32 s0, 10
	s_mov_b32 m0, s0
	s_sendmsg sendmsg(MSG_INTERRUPT)
	s_mov_b32 m0, ttmp2
.LBB6_1448:                             ; =>This Inner Loop Header: Depth=1
	s_sethalt 5
	s_branch .LBB6_1448
.LBB6_1449:
	s_or_b32 exec_lo, exec_lo, s2
.LBB6_1450:
	s_delay_alu instid0(SALU_CYCLE_1) | instskip(SKIP_2) | instid1(VALU_DEP_1)
	s_or_b32 exec_lo, exec_lo, s1
	v_and_b32_e32 v0, 0x2000, v30
	s_mov_b32 s1, exec_lo
	v_cmpx_ne_u32_e32 0, v0
	s_cbranch_execz .LBB6_1453
; %bb.1451:
	s_cbranch_execnz .LBB6_1461
; %bb.1452:
	ds_load_b64 v[2:3], v0
	s_waitcnt lgkmcnt(0)
	flat_store_b64 v[26:27], v[2:3] offset:16
.LBB6_1453:
	s_or_b32 exec_lo, exec_lo, s1
	v_cmp_ne_u32_e32 vcc_lo, 32, v1
	s_and_b32 exec_lo, exec_lo, vcc_lo
	s_cbranch_execz .LBB6_1652
; %bb.1454:
	s_mov_b32 s1, exec_lo
	v_cmpx_ne_u32_e64 v87, v1
	s_xor_b32 s1, exec_lo, s1
	s_cbranch_execz .LBB6_1650
; %bb.1455:
	v_and_b32_e32 v0, 31, v31
	s_mov_b32 s2, exec_lo
	s_delay_alu instid0(VALU_DEP_1)
	v_cmpx_eq_u32_e32 0, v0
	s_cbranch_execz .LBB6_1649
; %bb.1456:
	s_mov_b32 s4, exec_lo
	s_mov_b32 s3, exec_lo
	v_mbcnt_lo_u32_b32 v0, s4, 0
	s_waitcnt lgkmcnt(0)
	s_waitcnt_vscnt null, 0x0
	buffer_gl1_inv
	buffer_gl0_inv
	v_cmpx_eq_u32_e32 0, v0
	s_cbranch_execz .LBB6_1458
; %bb.1457:
	s_bcnt1_i32_b32 s4, s4
	s_delay_alu instid0(SALU_CYCLE_1)
	v_dual_mov_b32 v3, 0 :: v_dual_mov_b32 v2, s4
	ds_add_u64 v0, v[2:3]
	s_cbranch_execnz .LBB6_1496
.LBB6_1458:
	s_or_b32 exec_lo, exec_lo, s3
	s_cbranch_execnz .LBB6_1475
; %bb.1459:
	v_ashrrev_i32_e32 v0, 31, v1
	s_mov_b32 s3, exec_lo
	s_delay_alu instid0(VALU_DEP_1) | instskip(NEXT) | instid1(VALU_DEP_1)
	v_lshrrev_b32_e32 v0, 27, v0
	v_add_nc_u32_e32 v0, v1, v0
	ds_load_b64 v[2:3], v0
	v_ashrrev_i32_e32 v0, 5, v0
	s_delay_alu instid0(VALU_DEP_1) | instskip(SKIP_1) | instid1(VALU_DEP_2)
	v_ashrrev_i32_e32 v1, 31, v0
	v_add_co_u32 v0, vcc_lo, v48, v0
	v_add_co_ci_u32_e32 v1, vcc_lo, v49, v1, vcc_lo
	s_waitcnt lgkmcnt(0)
	s_delay_alu instid0(VALU_DEP_1)
	v_cmpx_lt_u64_e64 v[2:3], v[0:1]
	s_cbranch_execz .LBB6_1648
; %bb.1460:
	s_mov_b32 s4, 0
	s_mov_b32 s7, 0
                                        ; implicit-def: $sgpr5
                                        ; implicit-def: $sgpr6
	s_branch .LBB6_1482
.LBB6_1461:
	s_trap 2
	s_sendmsg_rtn_b32 s0, sendmsg(MSG_RTN_GET_DOORBELL)
	s_mov_b32 ttmp2, m0
	s_waitcnt lgkmcnt(0)
	s_and_b32 s0, s0, 0x3ff
	s_delay_alu instid0(SALU_CYCLE_1) | instskip(NEXT) | instid1(SALU_CYCLE_1)
	s_bitset1_b32 s0, 10
	s_mov_b32 m0, s0
	s_sendmsg sendmsg(MSG_INTERRUPT)
	s_mov_b32 m0, ttmp2
.LBB6_1462:                             ; =>This Inner Loop Header: Depth=1
	s_sethalt 5
	s_branch .LBB6_1462
.LBB6_1463:
	s_trap 2
	s_sendmsg_rtn_b32 s0, sendmsg(MSG_RTN_GET_DOORBELL)
	s_mov_b32 ttmp2, m0
	s_waitcnt lgkmcnt(0)
	s_and_b32 s0, s0, 0x3ff
	s_delay_alu instid0(SALU_CYCLE_1) | instskip(NEXT) | instid1(SALU_CYCLE_1)
	s_bitset1_b32 s0, 10
	s_mov_b32 m0, s0
	s_sendmsg sendmsg(MSG_INTERRUPT)
	s_mov_b32 m0, ttmp2
.LBB6_1464:                             ; =>This Inner Loop Header: Depth=1
	s_sethalt 5
	s_branch .LBB6_1464
.LBB6_1465:
	s_trap 2
	s_sendmsg_rtn_b32 s0, sendmsg(MSG_RTN_GET_DOORBELL)
	s_mov_b32 ttmp2, m0
	s_waitcnt lgkmcnt(0)
	s_and_b32 s0, s0, 0x3ff
	s_delay_alu instid0(SALU_CYCLE_1) | instskip(NEXT) | instid1(SALU_CYCLE_1)
	s_bitset1_b32 s0, 10
	s_mov_b32 m0, s0
	s_sendmsg sendmsg(MSG_INTERRUPT)
	s_mov_b32 m0, ttmp2
.LBB6_1466:                             ; =>This Inner Loop Header: Depth=1
	s_sethalt 5
	s_branch .LBB6_1466
.LBB6_1467:
	s_trap 2
	s_sendmsg_rtn_b32 s0, sendmsg(MSG_RTN_GET_DOORBELL)
	s_mov_b32 ttmp2, m0
	s_waitcnt lgkmcnt(0)
	s_and_b32 s0, s0, 0x3ff
	s_delay_alu instid0(SALU_CYCLE_1) | instskip(NEXT) | instid1(SALU_CYCLE_1)
	s_bitset1_b32 s0, 10
	s_mov_b32 m0, s0
	s_sendmsg sendmsg(MSG_INTERRUPT)
	s_mov_b32 m0, ttmp2
.LBB6_1468:                             ; =>This Inner Loop Header: Depth=1
	s_sethalt 5
	s_branch .LBB6_1468
.LBB6_1469:
	s_trap 2
	s_sendmsg_rtn_b32 s0, sendmsg(MSG_RTN_GET_DOORBELL)
	s_mov_b32 ttmp2, m0
	s_waitcnt lgkmcnt(0)
	s_and_b32 s0, s0, 0x3ff
	s_delay_alu instid0(SALU_CYCLE_1) | instskip(NEXT) | instid1(SALU_CYCLE_1)
	s_bitset1_b32 s0, 10
	s_mov_b32 m0, s0
	s_sendmsg sendmsg(MSG_INTERRUPT)
	s_mov_b32 m0, ttmp2
.LBB6_1470:                             ; =>This Inner Loop Header: Depth=1
	s_sethalt 5
	s_branch .LBB6_1470
.LBB6_1471:
	s_trap 2
	s_sendmsg_rtn_b32 s0, sendmsg(MSG_RTN_GET_DOORBELL)
	s_mov_b32 ttmp2, m0
	s_waitcnt lgkmcnt(0)
	s_and_b32 s0, s0, 0x3ff
	s_delay_alu instid0(SALU_CYCLE_1) | instskip(NEXT) | instid1(SALU_CYCLE_1)
	s_bitset1_b32 s0, 10
	s_mov_b32 m0, s0
	s_sendmsg sendmsg(MSG_INTERRUPT)
	s_mov_b32 m0, ttmp2
.LBB6_1472:                             ; =>This Inner Loop Header: Depth=1
	s_sethalt 5
	s_branch .LBB6_1472
.LBB6_1473:
	s_trap 2
	s_sendmsg_rtn_b32 s0, sendmsg(MSG_RTN_GET_DOORBELL)
	s_mov_b32 ttmp2, m0
	s_waitcnt lgkmcnt(0)
	s_and_b32 s0, s0, 0x3ff
	s_delay_alu instid0(SALU_CYCLE_1) | instskip(NEXT) | instid1(SALU_CYCLE_1)
	s_bitset1_b32 s0, 10
	s_mov_b32 m0, s0
	s_sendmsg sendmsg(MSG_INTERRUPT)
	s_mov_b32 m0, ttmp2
.LBB6_1474:                             ; =>This Inner Loop Header: Depth=1
	s_sethalt 5
	s_branch .LBB6_1474
.LBB6_1475:
	s_trap 2
	s_sendmsg_rtn_b32 s0, sendmsg(MSG_RTN_GET_DOORBELL)
	s_mov_b32 ttmp2, m0
	s_waitcnt lgkmcnt(0)
	s_and_b32 s0, s0, 0x3ff
	s_delay_alu instid0(SALU_CYCLE_1) | instskip(NEXT) | instid1(SALU_CYCLE_1)
	s_bitset1_b32 s0, 10
	s_mov_b32 m0, s0
	s_sendmsg sendmsg(MSG_INTERRUPT)
	s_mov_b32 m0, ttmp2
.LBB6_1476:                             ; =>This Inner Loop Header: Depth=1
	s_sethalt 5
	s_branch .LBB6_1476
.LBB6_1477:
	s_trap 2
	s_sendmsg_rtn_b32 s0, sendmsg(MSG_RTN_GET_DOORBELL)
	s_mov_b32 ttmp2, m0
	s_waitcnt lgkmcnt(0)
	s_and_b32 s0, s0, 0x3ff
	s_delay_alu instid0(SALU_CYCLE_1) | instskip(NEXT) | instid1(SALU_CYCLE_1)
	s_bitset1_b32 s0, 10
	s_mov_b32 m0, s0
	s_sendmsg sendmsg(MSG_INTERRUPT)
	s_mov_b32 m0, ttmp2
.LBB6_1478:                             ; =>This Inner Loop Header: Depth=1
	s_sethalt 5
	s_branch .LBB6_1478
.LBB6_1479:
	s_trap 2
	s_sendmsg_rtn_b32 s0, sendmsg(MSG_RTN_GET_DOORBELL)
	s_mov_b32 ttmp2, m0
	s_waitcnt lgkmcnt(0)
	s_and_b32 s0, s0, 0x3ff
	s_delay_alu instid0(SALU_CYCLE_1) | instskip(NEXT) | instid1(SALU_CYCLE_1)
	s_bitset1_b32 s0, 10
	s_mov_b32 m0, s0
	s_sendmsg sendmsg(MSG_INTERRUPT)
	s_mov_b32 m0, ttmp2
.LBB6_1480:                             ; =>This Inner Loop Header: Depth=1
	s_sethalt 5
	s_branch .LBB6_1480
.LBB6_1481:                             ;   in Loop: Header=BB6_1482 Depth=1
	s_or_b32 exec_lo, exec_lo, s12
	s_delay_alu instid0(SALU_CYCLE_1) | instskip(NEXT) | instid1(SALU_CYCLE_1)
	s_and_b32 s10, exec_lo, s11
	s_or_b32 s4, s10, s4
	s_and_not1_b32 s5, s5, exec_lo
	s_and_b32 s10, s6, exec_lo
	s_delay_alu instid0(SALU_CYCLE_1)
	s_or_b32 s5, s5, s10
	s_and_not1_b32 exec_lo, exec_lo, s4
	s_cbranch_execz .LBB6_1646
.LBB6_1482:                             ; =>This Inner Loop Header: Depth=1
	s_add_i32 s7, s7, 1
                                        ; implicit-def: $sgpr11
	s_delay_alu instid0(SALU_CYCLE_1) | instskip(SKIP_1) | instid1(SALU_CYCLE_1)
	s_cmpk_lg_i32 s7, 0x2710
	s_cselect_b32 s10, -1, 0
	s_and_b32 vcc_lo, exec_lo, s10
	s_cbranch_vccz .LBB6_1486
.LBB6_1483:                             ;   in Loop: Header=BB6_1482 Depth=1
	s_and_not1_b32 s6, s6, exec_lo
	s_and_b32 s12, s11, exec_lo
	s_mov_b32 s11, -1
	s_or_b32 s6, s6, s12
	s_and_saveexec_b32 s12, s10
	s_cbranch_execz .LBB6_1481
; %bb.1484:                             ;   in Loop: Header=BB6_1482 Depth=1
	s_sleep 1
	s_cbranch_execnz .LBB6_1534
; %bb.1485:                             ;   in Loop: Header=BB6_1482 Depth=1
	ds_load_b64 v[2:3], v0
	s_and_not1_b32 s6, s6, exec_lo
	s_waitcnt lgkmcnt(0)
	v_cmp_ge_u64_e32 vcc_lo, v[2:3], v[0:1]
	s_or_not1_b32 s11, vcc_lo, exec_lo
	s_branch .LBB6_1481
.LBB6_1486:                             ;   in Loop: Header=BB6_1482 Depth=1
	s_cbranch_execnz .LBB6_1536
; %bb.1487:                             ;   in Loop: Header=BB6_1482 Depth=1
	ds_load_b64 v[2:3], v0
	s_and_not1_b32 s10, s10, exec_lo
	s_mov_b32 s7, 0
	s_mov_b32 s11, -1
	s_waitcnt lgkmcnt(0)
	flat_load_b32 v2, v[2:3] glc
	s_waitcnt vmcnt(0) lgkmcnt(0)
	buffer_gl1_inv
	buffer_gl0_inv
	v_cmp_eq_u32_e32 vcc_lo, 0, v2
	s_and_b32 s12, vcc_lo, exec_lo
	s_delay_alu instid0(SALU_CYCLE_1)
	s_or_b32 s10, s10, s12
	s_branch .LBB6_1483
.LBB6_1488:
	s_trap 2
	s_sendmsg_rtn_b32 s0, sendmsg(MSG_RTN_GET_DOORBELL)
	s_mov_b32 ttmp2, m0
	s_waitcnt lgkmcnt(0)
	s_and_b32 s0, s0, 0x3ff
	s_delay_alu instid0(SALU_CYCLE_1) | instskip(NEXT) | instid1(SALU_CYCLE_1)
	s_bitset1_b32 s0, 10
	s_mov_b32 m0, s0
	s_sendmsg sendmsg(MSG_INTERRUPT)
	s_mov_b32 m0, ttmp2
.LBB6_1489:                             ; =>This Inner Loop Header: Depth=1
	s_sethalt 5
	s_branch .LBB6_1489
.LBB6_1490:
	s_trap 2
	s_sendmsg_rtn_b32 s0, sendmsg(MSG_RTN_GET_DOORBELL)
	s_mov_b32 ttmp2, m0
	s_waitcnt lgkmcnt(0)
	s_and_b32 s0, s0, 0x3ff
	s_delay_alu instid0(SALU_CYCLE_1) | instskip(NEXT) | instid1(SALU_CYCLE_1)
	s_bitset1_b32 s0, 10
	s_mov_b32 m0, s0
	s_sendmsg sendmsg(MSG_INTERRUPT)
	s_mov_b32 m0, ttmp2
.LBB6_1491:                             ; =>This Inner Loop Header: Depth=1
	s_sethalt 5
	s_branch .LBB6_1491
.LBB6_1492:
	s_trap 2
	s_sendmsg_rtn_b32 s0, sendmsg(MSG_RTN_GET_DOORBELL)
	s_mov_b32 ttmp2, m0
	s_waitcnt lgkmcnt(0)
	s_and_b32 s0, s0, 0x3ff
	s_delay_alu instid0(SALU_CYCLE_1) | instskip(NEXT) | instid1(SALU_CYCLE_1)
	s_bitset1_b32 s0, 10
	s_mov_b32 m0, s0
	s_sendmsg sendmsg(MSG_INTERRUPT)
	s_mov_b32 m0, ttmp2
.LBB6_1493:                             ; =>This Inner Loop Header: Depth=1
	s_sethalt 5
	s_branch .LBB6_1493
.LBB6_1494:
	s_trap 2
	s_sendmsg_rtn_b32 s0, sendmsg(MSG_RTN_GET_DOORBELL)
	s_mov_b32 ttmp2, m0
	s_waitcnt lgkmcnt(0)
	s_and_b32 s0, s0, 0x3ff
	s_delay_alu instid0(SALU_CYCLE_1) | instskip(NEXT) | instid1(SALU_CYCLE_1)
	s_bitset1_b32 s0, 10
	s_mov_b32 m0, s0
	s_sendmsg sendmsg(MSG_INTERRUPT)
	s_mov_b32 m0, ttmp2
.LBB6_1495:                             ; =>This Inner Loop Header: Depth=1
	s_sethalt 5
	s_branch .LBB6_1495
.LBB6_1496:
	s_trap 2
	s_sendmsg_rtn_b32 s0, sendmsg(MSG_RTN_GET_DOORBELL)
	s_mov_b32 ttmp2, m0
	s_waitcnt lgkmcnt(0)
	s_and_b32 s0, s0, 0x3ff
	s_delay_alu instid0(SALU_CYCLE_1) | instskip(NEXT) | instid1(SALU_CYCLE_1)
	s_bitset1_b32 s0, 10
	s_mov_b32 m0, s0
	s_sendmsg sendmsg(MSG_INTERRUPT)
	s_mov_b32 m0, ttmp2
.LBB6_1497:                             ; =>This Inner Loop Header: Depth=1
	s_sethalt 5
	s_branch .LBB6_1497
.LBB6_1498:
	s_trap 2
	s_sendmsg_rtn_b32 s0, sendmsg(MSG_RTN_GET_DOORBELL)
	s_mov_b32 ttmp2, m0
	s_waitcnt lgkmcnt(0)
	s_and_b32 s0, s0, 0x3ff
	s_delay_alu instid0(SALU_CYCLE_1) | instskip(NEXT) | instid1(SALU_CYCLE_1)
	s_bitset1_b32 s0, 10
	s_mov_b32 m0, s0
	s_sendmsg sendmsg(MSG_INTERRUPT)
	s_mov_b32 m0, ttmp2
.LBB6_1499:                             ; =>This Inner Loop Header: Depth=1
	s_sethalt 5
	s_branch .LBB6_1499
.LBB6_1500:
	s_trap 2
	s_sendmsg_rtn_b32 s0, sendmsg(MSG_RTN_GET_DOORBELL)
	s_mov_b32 ttmp2, m0
	s_waitcnt lgkmcnt(0)
	s_and_b32 s0, s0, 0x3ff
	s_delay_alu instid0(SALU_CYCLE_1) | instskip(NEXT) | instid1(SALU_CYCLE_1)
	s_bitset1_b32 s0, 10
	s_mov_b32 m0, s0
	s_sendmsg sendmsg(MSG_INTERRUPT)
	s_mov_b32 m0, ttmp2
.LBB6_1501:                             ; =>This Inner Loop Header: Depth=1
	s_sethalt 5
	s_branch .LBB6_1501
.LBB6_1502:
	s_trap 2
	s_sendmsg_rtn_b32 s0, sendmsg(MSG_RTN_GET_DOORBELL)
	s_mov_b32 ttmp2, m0
	s_waitcnt lgkmcnt(0)
	s_and_b32 s0, s0, 0x3ff
	s_delay_alu instid0(SALU_CYCLE_1) | instskip(NEXT) | instid1(SALU_CYCLE_1)
	s_bitset1_b32 s0, 10
	s_mov_b32 m0, s0
	s_sendmsg sendmsg(MSG_INTERRUPT)
	s_mov_b32 m0, ttmp2
.LBB6_1503:                             ; =>This Inner Loop Header: Depth=1
	s_sethalt 5
	s_branch .LBB6_1503
.LBB6_1504:
	s_trap 2
	s_sendmsg_rtn_b32 s0, sendmsg(MSG_RTN_GET_DOORBELL)
	s_mov_b32 ttmp2, m0
	s_waitcnt lgkmcnt(0)
	s_and_b32 s0, s0, 0x3ff
	s_delay_alu instid0(SALU_CYCLE_1) | instskip(NEXT) | instid1(SALU_CYCLE_1)
	s_bitset1_b32 s0, 10
	s_mov_b32 m0, s0
	s_sendmsg sendmsg(MSG_INTERRUPT)
	s_mov_b32 m0, ttmp2
.LBB6_1505:                             ; =>This Inner Loop Header: Depth=1
	s_sethalt 5
	s_branch .LBB6_1505
.LBB6_1506:
	s_trap 2
	s_sendmsg_rtn_b32 s0, sendmsg(MSG_RTN_GET_DOORBELL)
	s_mov_b32 ttmp2, m0
	s_waitcnt lgkmcnt(0)
	s_and_b32 s0, s0, 0x3ff
	s_delay_alu instid0(SALU_CYCLE_1) | instskip(NEXT) | instid1(SALU_CYCLE_1)
	s_bitset1_b32 s0, 10
	s_mov_b32 m0, s0
	s_sendmsg sendmsg(MSG_INTERRUPT)
	s_mov_b32 m0, ttmp2
.LBB6_1507:                             ; =>This Inner Loop Header: Depth=1
	s_sethalt 5
	s_branch .LBB6_1507
.LBB6_1508:
	s_trap 2
	s_sendmsg_rtn_b32 s0, sendmsg(MSG_RTN_GET_DOORBELL)
	s_mov_b32 ttmp2, m0
	s_waitcnt lgkmcnt(0)
	s_and_b32 s0, s0, 0x3ff
	s_delay_alu instid0(SALU_CYCLE_1) | instskip(NEXT) | instid1(SALU_CYCLE_1)
	s_bitset1_b32 s0, 10
	s_mov_b32 m0, s0
	s_sendmsg sendmsg(MSG_INTERRUPT)
	s_mov_b32 m0, ttmp2
.LBB6_1509:                             ; =>This Inner Loop Header: Depth=1
	s_sethalt 5
	s_branch .LBB6_1509
.LBB6_1510:
	s_trap 2
	s_sendmsg_rtn_b32 s0, sendmsg(MSG_RTN_GET_DOORBELL)
	s_mov_b32 ttmp2, m0
	s_waitcnt lgkmcnt(0)
	s_and_b32 s0, s0, 0x3ff
	s_delay_alu instid0(SALU_CYCLE_1) | instskip(NEXT) | instid1(SALU_CYCLE_1)
	s_bitset1_b32 s0, 10
	s_mov_b32 m0, s0
	s_sendmsg sendmsg(MSG_INTERRUPT)
	s_mov_b32 m0, ttmp2
.LBB6_1511:                             ; =>This Inner Loop Header: Depth=1
	s_sethalt 5
	s_branch .LBB6_1511
.LBB6_1512:
	s_trap 2
	s_sendmsg_rtn_b32 s0, sendmsg(MSG_RTN_GET_DOORBELL)
	s_mov_b32 ttmp2, m0
	s_waitcnt lgkmcnt(0)
	s_and_b32 s0, s0, 0x3ff
	s_delay_alu instid0(SALU_CYCLE_1) | instskip(NEXT) | instid1(SALU_CYCLE_1)
	s_bitset1_b32 s0, 10
	s_mov_b32 m0, s0
	s_sendmsg sendmsg(MSG_INTERRUPT)
	s_mov_b32 m0, ttmp2
.LBB6_1513:                             ; =>This Inner Loop Header: Depth=1
	s_sethalt 5
	s_branch .LBB6_1513
.LBB6_1514:
	s_trap 2
	s_sendmsg_rtn_b32 s0, sendmsg(MSG_RTN_GET_DOORBELL)
	s_mov_b32 ttmp2, m0
	s_waitcnt lgkmcnt(0)
	s_and_b32 s0, s0, 0x3ff
	s_delay_alu instid0(SALU_CYCLE_1) | instskip(NEXT) | instid1(SALU_CYCLE_1)
	s_bitset1_b32 s0, 10
	s_mov_b32 m0, s0
	s_sendmsg sendmsg(MSG_INTERRUPT)
	s_mov_b32 m0, ttmp2
.LBB6_1515:                             ; =>This Inner Loop Header: Depth=1
	s_sethalt 5
	s_branch .LBB6_1515
.LBB6_1516:
	s_trap 2
	s_sendmsg_rtn_b32 s0, sendmsg(MSG_RTN_GET_DOORBELL)
	s_mov_b32 ttmp2, m0
	s_waitcnt lgkmcnt(0)
	s_and_b32 s0, s0, 0x3ff
	s_delay_alu instid0(SALU_CYCLE_1) | instskip(NEXT) | instid1(SALU_CYCLE_1)
	s_bitset1_b32 s0, 10
	s_mov_b32 m0, s0
	s_sendmsg sendmsg(MSG_INTERRUPT)
	s_mov_b32 m0, ttmp2
.LBB6_1517:                             ; =>This Inner Loop Header: Depth=1
	s_sethalt 5
	s_branch .LBB6_1517
.LBB6_1518:
	s_trap 2
	s_sendmsg_rtn_b32 s0, sendmsg(MSG_RTN_GET_DOORBELL)
	s_mov_b32 ttmp2, m0
	s_waitcnt lgkmcnt(0)
	s_and_b32 s0, s0, 0x3ff
	s_delay_alu instid0(SALU_CYCLE_1) | instskip(NEXT) | instid1(SALU_CYCLE_1)
	s_bitset1_b32 s0, 10
	s_mov_b32 m0, s0
	s_sendmsg sendmsg(MSG_INTERRUPT)
	s_mov_b32 m0, ttmp2
.LBB6_1519:                             ; =>This Inner Loop Header: Depth=1
	s_sethalt 5
	s_branch .LBB6_1519
.LBB6_1520:
	s_trap 2
	s_sendmsg_rtn_b32 s0, sendmsg(MSG_RTN_GET_DOORBELL)
	s_mov_b32 ttmp2, m0
	s_waitcnt lgkmcnt(0)
	s_and_b32 s0, s0, 0x3ff
	s_delay_alu instid0(SALU_CYCLE_1) | instskip(NEXT) | instid1(SALU_CYCLE_1)
	s_bitset1_b32 s0, 10
	s_mov_b32 m0, s0
	s_sendmsg sendmsg(MSG_INTERRUPT)
	s_mov_b32 m0, ttmp2
.LBB6_1521:                             ; =>This Inner Loop Header: Depth=1
	s_sethalt 5
	s_branch .LBB6_1521
.LBB6_1522:
	s_trap 2
	s_sendmsg_rtn_b32 s0, sendmsg(MSG_RTN_GET_DOORBELL)
	s_mov_b32 ttmp2, m0
	s_waitcnt lgkmcnt(0)
	s_and_b32 s0, s0, 0x3ff
	s_delay_alu instid0(SALU_CYCLE_1) | instskip(NEXT) | instid1(SALU_CYCLE_1)
	s_bitset1_b32 s0, 10
	s_mov_b32 m0, s0
	s_sendmsg sendmsg(MSG_INTERRUPT)
	s_mov_b32 m0, ttmp2
.LBB6_1523:                             ; =>This Inner Loop Header: Depth=1
	s_sethalt 5
	s_branch .LBB6_1523
.LBB6_1524:
	s_trap 2
	s_sendmsg_rtn_b32 s0, sendmsg(MSG_RTN_GET_DOORBELL)
	s_mov_b32 ttmp2, m0
	s_waitcnt lgkmcnt(0)
	s_and_b32 s0, s0, 0x3ff
	s_delay_alu instid0(SALU_CYCLE_1) | instskip(NEXT) | instid1(SALU_CYCLE_1)
	s_bitset1_b32 s0, 10
	s_mov_b32 m0, s0
	s_sendmsg sendmsg(MSG_INTERRUPT)
	s_mov_b32 m0, ttmp2
.LBB6_1525:                             ; =>This Inner Loop Header: Depth=1
	s_sethalt 5
	s_branch .LBB6_1525
.LBB6_1526:
	s_trap 2
	s_sendmsg_rtn_b32 s0, sendmsg(MSG_RTN_GET_DOORBELL)
	s_mov_b32 ttmp2, m0
	s_waitcnt lgkmcnt(0)
	s_and_b32 s0, s0, 0x3ff
	s_delay_alu instid0(SALU_CYCLE_1) | instskip(NEXT) | instid1(SALU_CYCLE_1)
	s_bitset1_b32 s0, 10
	s_mov_b32 m0, s0
	s_sendmsg sendmsg(MSG_INTERRUPT)
	s_mov_b32 m0, ttmp2
.LBB6_1527:                             ; =>This Inner Loop Header: Depth=1
	s_sethalt 5
	s_branch .LBB6_1527
.LBB6_1528:
	s_trap 2
	s_sendmsg_rtn_b32 s0, sendmsg(MSG_RTN_GET_DOORBELL)
	s_mov_b32 ttmp2, m0
	s_waitcnt lgkmcnt(0)
	s_and_b32 s0, s0, 0x3ff
	s_delay_alu instid0(SALU_CYCLE_1) | instskip(NEXT) | instid1(SALU_CYCLE_1)
	s_bitset1_b32 s0, 10
	s_mov_b32 m0, s0
	s_sendmsg sendmsg(MSG_INTERRUPT)
	s_mov_b32 m0, ttmp2
.LBB6_1529:                             ; =>This Inner Loop Header: Depth=1
	s_sethalt 5
	s_branch .LBB6_1529
.LBB6_1530:
	s_trap 2
	s_sendmsg_rtn_b32 s0, sendmsg(MSG_RTN_GET_DOORBELL)
	s_mov_b32 ttmp2, m0
	s_waitcnt lgkmcnt(0)
	s_and_b32 s0, s0, 0x3ff
	s_delay_alu instid0(SALU_CYCLE_1) | instskip(NEXT) | instid1(SALU_CYCLE_1)
	s_bitset1_b32 s0, 10
	s_mov_b32 m0, s0
	s_sendmsg sendmsg(MSG_INTERRUPT)
	s_mov_b32 m0, ttmp2
.LBB6_1531:                             ; =>This Inner Loop Header: Depth=1
	s_sethalt 5
	s_branch .LBB6_1531
.LBB6_1532:
	s_trap 2
	s_sendmsg_rtn_b32 s0, sendmsg(MSG_RTN_GET_DOORBELL)
	s_mov_b32 ttmp2, m0
	s_waitcnt lgkmcnt(0)
	s_and_b32 s0, s0, 0x3ff
	s_delay_alu instid0(SALU_CYCLE_1) | instskip(NEXT) | instid1(SALU_CYCLE_1)
	s_bitset1_b32 s0, 10
	s_mov_b32 m0, s0
	s_sendmsg sendmsg(MSG_INTERRUPT)
	s_mov_b32 m0, ttmp2
.LBB6_1533:                             ; =>This Inner Loop Header: Depth=1
	s_sethalt 5
	s_branch .LBB6_1533
.LBB6_1534:
	s_trap 2
	s_sendmsg_rtn_b32 s0, sendmsg(MSG_RTN_GET_DOORBELL)
	s_mov_b32 ttmp2, m0
	s_waitcnt lgkmcnt(0)
	s_and_b32 s0, s0, 0x3ff
	s_delay_alu instid0(SALU_CYCLE_1) | instskip(NEXT) | instid1(SALU_CYCLE_1)
	s_bitset1_b32 s0, 10
	s_mov_b32 m0, s0
	s_sendmsg sendmsg(MSG_INTERRUPT)
	s_mov_b32 m0, ttmp2
.LBB6_1535:                             ; =>This Inner Loop Header: Depth=1
	s_sethalt 5
	s_branch .LBB6_1535
.LBB6_1536:
	s_trap 2
	s_sendmsg_rtn_b32 s0, sendmsg(MSG_RTN_GET_DOORBELL)
	s_mov_b32 ttmp2, m0
	s_waitcnt lgkmcnt(0)
	s_and_b32 s0, s0, 0x3ff
	s_delay_alu instid0(SALU_CYCLE_1) | instskip(NEXT) | instid1(SALU_CYCLE_1)
	s_bitset1_b32 s0, 10
	s_mov_b32 m0, s0
	s_sendmsg sendmsg(MSG_INTERRUPT)
	s_mov_b32 m0, ttmp2
.LBB6_1537:                             ; =>This Inner Loop Header: Depth=1
	s_sethalt 5
	s_branch .LBB6_1537
.LBB6_1538:
	s_trap 2
	s_sendmsg_rtn_b32 s0, sendmsg(MSG_RTN_GET_DOORBELL)
	s_mov_b32 ttmp2, m0
	s_waitcnt lgkmcnt(0)
	s_and_b32 s0, s0, 0x3ff
	s_delay_alu instid0(SALU_CYCLE_1) | instskip(NEXT) | instid1(SALU_CYCLE_1)
	s_bitset1_b32 s0, 10
	s_mov_b32 m0, s0
	s_sendmsg sendmsg(MSG_INTERRUPT)
	s_mov_b32 m0, ttmp2
.LBB6_1539:                             ; =>This Inner Loop Header: Depth=1
	s_sethalt 5
	s_branch .LBB6_1539
.LBB6_1540:
	s_trap 2
	s_sendmsg_rtn_b32 s0, sendmsg(MSG_RTN_GET_DOORBELL)
	s_mov_b32 ttmp2, m0
	s_waitcnt lgkmcnt(0)
	s_and_b32 s0, s0, 0x3ff
	s_delay_alu instid0(SALU_CYCLE_1) | instskip(NEXT) | instid1(SALU_CYCLE_1)
	s_bitset1_b32 s0, 10
	s_mov_b32 m0, s0
	s_sendmsg sendmsg(MSG_INTERRUPT)
	s_mov_b32 m0, ttmp2
.LBB6_1541:                             ; =>This Inner Loop Header: Depth=1
	s_sethalt 5
	s_branch .LBB6_1541
.LBB6_1542:
	s_trap 2
	s_sendmsg_rtn_b32 s0, sendmsg(MSG_RTN_GET_DOORBELL)
	s_mov_b32 ttmp2, m0
	s_waitcnt lgkmcnt(0)
	s_and_b32 s0, s0, 0x3ff
	s_delay_alu instid0(SALU_CYCLE_1) | instskip(NEXT) | instid1(SALU_CYCLE_1)
	s_bitset1_b32 s0, 10
	s_mov_b32 m0, s0
	s_sendmsg sendmsg(MSG_INTERRUPT)
	s_mov_b32 m0, ttmp2
.LBB6_1543:                             ; =>This Inner Loop Header: Depth=1
	s_sethalt 5
	s_branch .LBB6_1543
.LBB6_1544:
	s_trap 2
	s_sendmsg_rtn_b32 s0, sendmsg(MSG_RTN_GET_DOORBELL)
	s_mov_b32 ttmp2, m0
	s_waitcnt lgkmcnt(0)
	s_and_b32 s0, s0, 0x3ff
	s_delay_alu instid0(SALU_CYCLE_1) | instskip(NEXT) | instid1(SALU_CYCLE_1)
	s_bitset1_b32 s0, 10
	s_mov_b32 m0, s0
	s_sendmsg sendmsg(MSG_INTERRUPT)
	s_mov_b32 m0, ttmp2
.LBB6_1545:                             ; =>This Inner Loop Header: Depth=1
	s_sethalt 5
	s_branch .LBB6_1545
.LBB6_1546:
	s_trap 2
	s_sendmsg_rtn_b32 s0, sendmsg(MSG_RTN_GET_DOORBELL)
	s_mov_b32 ttmp2, m0
	s_waitcnt lgkmcnt(0)
	s_and_b32 s0, s0, 0x3ff
	s_delay_alu instid0(SALU_CYCLE_1) | instskip(NEXT) | instid1(SALU_CYCLE_1)
	s_bitset1_b32 s0, 10
	s_mov_b32 m0, s0
	s_sendmsg sendmsg(MSG_INTERRUPT)
	s_mov_b32 m0, ttmp2
.LBB6_1547:                             ; =>This Inner Loop Header: Depth=1
	s_sethalt 5
	s_branch .LBB6_1547
.LBB6_1548:
	s_trap 2
	s_sendmsg_rtn_b32 s0, sendmsg(MSG_RTN_GET_DOORBELL)
	s_mov_b32 ttmp2, m0
	s_waitcnt lgkmcnt(0)
	s_and_b32 s0, s0, 0x3ff
	s_delay_alu instid0(SALU_CYCLE_1) | instskip(NEXT) | instid1(SALU_CYCLE_1)
	s_bitset1_b32 s0, 10
	s_mov_b32 m0, s0
	s_sendmsg sendmsg(MSG_INTERRUPT)
	s_mov_b32 m0, ttmp2
.LBB6_1549:                             ; =>This Inner Loop Header: Depth=1
	s_sethalt 5
	s_branch .LBB6_1549
.LBB6_1550:
	s_trap 2
	s_sendmsg_rtn_b32 s0, sendmsg(MSG_RTN_GET_DOORBELL)
	s_mov_b32 ttmp2, m0
	s_waitcnt lgkmcnt(0)
	s_and_b32 s0, s0, 0x3ff
	s_delay_alu instid0(SALU_CYCLE_1) | instskip(NEXT) | instid1(SALU_CYCLE_1)
	s_bitset1_b32 s0, 10
	s_mov_b32 m0, s0
	s_sendmsg sendmsg(MSG_INTERRUPT)
	s_mov_b32 m0, ttmp2
.LBB6_1551:                             ; =>This Inner Loop Header: Depth=1
	s_sethalt 5
	s_branch .LBB6_1551
.LBB6_1552:
	s_trap 2
	s_sendmsg_rtn_b32 s0, sendmsg(MSG_RTN_GET_DOORBELL)
	s_mov_b32 ttmp2, m0
	s_waitcnt lgkmcnt(0)
	s_and_b32 s0, s0, 0x3ff
	s_delay_alu instid0(SALU_CYCLE_1) | instskip(NEXT) | instid1(SALU_CYCLE_1)
	s_bitset1_b32 s0, 10
	s_mov_b32 m0, s0
	s_sendmsg sendmsg(MSG_INTERRUPT)
	s_mov_b32 m0, ttmp2
.LBB6_1553:                             ; =>This Inner Loop Header: Depth=1
	s_sethalt 5
	s_branch .LBB6_1553
.LBB6_1554:
	s_trap 2
	s_sendmsg_rtn_b32 s0, sendmsg(MSG_RTN_GET_DOORBELL)
	s_mov_b32 ttmp2, m0
	s_waitcnt lgkmcnt(0)
	s_and_b32 s0, s0, 0x3ff
	s_delay_alu instid0(SALU_CYCLE_1) | instskip(NEXT) | instid1(SALU_CYCLE_1)
	s_bitset1_b32 s0, 10
	s_mov_b32 m0, s0
	s_sendmsg sendmsg(MSG_INTERRUPT)
	s_mov_b32 m0, ttmp2
.LBB6_1555:                             ; =>This Inner Loop Header: Depth=1
	s_sethalt 5
	s_branch .LBB6_1555
.LBB6_1556:
	s_trap 2
	s_sendmsg_rtn_b32 s0, sendmsg(MSG_RTN_GET_DOORBELL)
	s_mov_b32 ttmp2, m0
	s_waitcnt lgkmcnt(0)
	s_and_b32 s0, s0, 0x3ff
	s_delay_alu instid0(SALU_CYCLE_1) | instskip(NEXT) | instid1(SALU_CYCLE_1)
	s_bitset1_b32 s0, 10
	s_mov_b32 m0, s0
	s_sendmsg sendmsg(MSG_INTERRUPT)
	s_mov_b32 m0, ttmp2
.LBB6_1557:                             ; =>This Inner Loop Header: Depth=1
	s_sethalt 5
	s_branch .LBB6_1557
.LBB6_1558:
	s_trap 2
	s_sendmsg_rtn_b32 s0, sendmsg(MSG_RTN_GET_DOORBELL)
	s_mov_b32 ttmp2, m0
	s_waitcnt lgkmcnt(0)
	s_and_b32 s0, s0, 0x3ff
	s_delay_alu instid0(SALU_CYCLE_1) | instskip(NEXT) | instid1(SALU_CYCLE_1)
	s_bitset1_b32 s0, 10
	s_mov_b32 m0, s0
	s_sendmsg sendmsg(MSG_INTERRUPT)
	s_mov_b32 m0, ttmp2
.LBB6_1559:                             ; =>This Inner Loop Header: Depth=1
	s_sethalt 5
	s_branch .LBB6_1559
.LBB6_1560:
	s_trap 2
	s_sendmsg_rtn_b32 s0, sendmsg(MSG_RTN_GET_DOORBELL)
	s_mov_b32 ttmp2, m0
	s_waitcnt lgkmcnt(0)
	s_and_b32 s0, s0, 0x3ff
	s_delay_alu instid0(SALU_CYCLE_1) | instskip(NEXT) | instid1(SALU_CYCLE_1)
	s_bitset1_b32 s0, 10
	s_mov_b32 m0, s0
	s_sendmsg sendmsg(MSG_INTERRUPT)
	s_mov_b32 m0, ttmp2
.LBB6_1561:                             ; =>This Inner Loop Header: Depth=1
	s_sethalt 5
	s_branch .LBB6_1561
.LBB6_1562:
	s_trap 2
	s_sendmsg_rtn_b32 s0, sendmsg(MSG_RTN_GET_DOORBELL)
	s_mov_b32 ttmp2, m0
	s_waitcnt lgkmcnt(0)
	s_and_b32 s0, s0, 0x3ff
	s_delay_alu instid0(SALU_CYCLE_1) | instskip(NEXT) | instid1(SALU_CYCLE_1)
	s_bitset1_b32 s0, 10
	s_mov_b32 m0, s0
	s_sendmsg sendmsg(MSG_INTERRUPT)
	s_mov_b32 m0, ttmp2
.LBB6_1563:                             ; =>This Inner Loop Header: Depth=1
	s_sethalt 5
	s_branch .LBB6_1563
.LBB6_1564:
	s_trap 2
	s_sendmsg_rtn_b32 s0, sendmsg(MSG_RTN_GET_DOORBELL)
	s_mov_b32 ttmp2, m0
	s_waitcnt lgkmcnt(0)
	s_and_b32 s0, s0, 0x3ff
	s_delay_alu instid0(SALU_CYCLE_1) | instskip(NEXT) | instid1(SALU_CYCLE_1)
	s_bitset1_b32 s0, 10
	s_mov_b32 m0, s0
	s_sendmsg sendmsg(MSG_INTERRUPT)
	s_mov_b32 m0, ttmp2
.LBB6_1565:                             ; =>This Inner Loop Header: Depth=1
	s_sethalt 5
	s_branch .LBB6_1565
.LBB6_1566:
	s_trap 2
	s_sendmsg_rtn_b32 s0, sendmsg(MSG_RTN_GET_DOORBELL)
	s_mov_b32 ttmp2, m0
	s_waitcnt lgkmcnt(0)
	s_and_b32 s0, s0, 0x3ff
	s_delay_alu instid0(SALU_CYCLE_1) | instskip(NEXT) | instid1(SALU_CYCLE_1)
	s_bitset1_b32 s0, 10
	s_mov_b32 m0, s0
	s_sendmsg sendmsg(MSG_INTERRUPT)
	s_mov_b32 m0, ttmp2
.LBB6_1567:                             ; =>This Inner Loop Header: Depth=1
	s_sethalt 5
	s_branch .LBB6_1567
.LBB6_1568:
	s_trap 2
	s_sendmsg_rtn_b32 s0, sendmsg(MSG_RTN_GET_DOORBELL)
	s_mov_b32 ttmp2, m0
	s_waitcnt lgkmcnt(0)
	s_and_b32 s0, s0, 0x3ff
	s_delay_alu instid0(SALU_CYCLE_1) | instskip(NEXT) | instid1(SALU_CYCLE_1)
	s_bitset1_b32 s0, 10
	s_mov_b32 m0, s0
	s_sendmsg sendmsg(MSG_INTERRUPT)
	s_mov_b32 m0, ttmp2
.LBB6_1569:                             ; =>This Inner Loop Header: Depth=1
	s_sethalt 5
	s_branch .LBB6_1569
.LBB6_1570:
	s_trap 2
	s_sendmsg_rtn_b32 s0, sendmsg(MSG_RTN_GET_DOORBELL)
	s_mov_b32 ttmp2, m0
	s_waitcnt lgkmcnt(0)
	s_and_b32 s0, s0, 0x3ff
	s_delay_alu instid0(SALU_CYCLE_1) | instskip(NEXT) | instid1(SALU_CYCLE_1)
	s_bitset1_b32 s0, 10
	s_mov_b32 m0, s0
	s_sendmsg sendmsg(MSG_INTERRUPT)
	s_mov_b32 m0, ttmp2
.LBB6_1571:                             ; =>This Inner Loop Header: Depth=1
	s_sethalt 5
	s_branch .LBB6_1571
.LBB6_1572:
	s_trap 2
	s_sendmsg_rtn_b32 s0, sendmsg(MSG_RTN_GET_DOORBELL)
	s_mov_b32 ttmp2, m0
	s_waitcnt lgkmcnt(0)
	s_and_b32 s0, s0, 0x3ff
	s_delay_alu instid0(SALU_CYCLE_1) | instskip(NEXT) | instid1(SALU_CYCLE_1)
	s_bitset1_b32 s0, 10
	s_mov_b32 m0, s0
	s_sendmsg sendmsg(MSG_INTERRUPT)
	s_mov_b32 m0, ttmp2
.LBB6_1573:                             ; =>This Inner Loop Header: Depth=1
	s_sethalt 5
	s_branch .LBB6_1573
.LBB6_1574:
	s_trap 2
	s_sendmsg_rtn_b32 s0, sendmsg(MSG_RTN_GET_DOORBELL)
	s_mov_b32 ttmp2, m0
	s_waitcnt lgkmcnt(0)
	s_and_b32 s0, s0, 0x3ff
	s_delay_alu instid0(SALU_CYCLE_1) | instskip(NEXT) | instid1(SALU_CYCLE_1)
	s_bitset1_b32 s0, 10
	s_mov_b32 m0, s0
	s_sendmsg sendmsg(MSG_INTERRUPT)
	s_mov_b32 m0, ttmp2
.LBB6_1575:                             ; =>This Inner Loop Header: Depth=1
	s_sethalt 5
	s_branch .LBB6_1575
.LBB6_1576:
	s_trap 2
	s_sendmsg_rtn_b32 s0, sendmsg(MSG_RTN_GET_DOORBELL)
	s_mov_b32 ttmp2, m0
	s_waitcnt lgkmcnt(0)
	s_and_b32 s0, s0, 0x3ff
	s_delay_alu instid0(SALU_CYCLE_1) | instskip(NEXT) | instid1(SALU_CYCLE_1)
	s_bitset1_b32 s0, 10
	s_mov_b32 m0, s0
	s_sendmsg sendmsg(MSG_INTERRUPT)
	s_mov_b32 m0, ttmp2
.LBB6_1577:                             ; =>This Inner Loop Header: Depth=1
	s_sethalt 5
	s_branch .LBB6_1577
.LBB6_1578:
	s_trap 2
	s_sendmsg_rtn_b32 s0, sendmsg(MSG_RTN_GET_DOORBELL)
	s_mov_b32 ttmp2, m0
	s_waitcnt lgkmcnt(0)
	s_and_b32 s0, s0, 0x3ff
	s_delay_alu instid0(SALU_CYCLE_1) | instskip(NEXT) | instid1(SALU_CYCLE_1)
	s_bitset1_b32 s0, 10
	s_mov_b32 m0, s0
	s_sendmsg sendmsg(MSG_INTERRUPT)
	s_mov_b32 m0, ttmp2
.LBB6_1579:                             ; =>This Inner Loop Header: Depth=1
	s_sethalt 5
	s_branch .LBB6_1579
.LBB6_1580:
	s_trap 2
	s_sendmsg_rtn_b32 s0, sendmsg(MSG_RTN_GET_DOORBELL)
	s_mov_b32 ttmp2, m0
	s_waitcnt lgkmcnt(0)
	s_and_b32 s0, s0, 0x3ff
	s_delay_alu instid0(SALU_CYCLE_1) | instskip(NEXT) | instid1(SALU_CYCLE_1)
	s_bitset1_b32 s0, 10
	s_mov_b32 m0, s0
	s_sendmsg sendmsg(MSG_INTERRUPT)
	s_mov_b32 m0, ttmp2
.LBB6_1581:                             ; =>This Inner Loop Header: Depth=1
	s_sethalt 5
	s_branch .LBB6_1581
.LBB6_1582:
	s_trap 2
	s_sendmsg_rtn_b32 s0, sendmsg(MSG_RTN_GET_DOORBELL)
	s_mov_b32 ttmp2, m0
	s_waitcnt lgkmcnt(0)
	s_and_b32 s0, s0, 0x3ff
	s_delay_alu instid0(SALU_CYCLE_1) | instskip(NEXT) | instid1(SALU_CYCLE_1)
	s_bitset1_b32 s0, 10
	s_mov_b32 m0, s0
	s_sendmsg sendmsg(MSG_INTERRUPT)
	s_mov_b32 m0, ttmp2
.LBB6_1583:                             ; =>This Inner Loop Header: Depth=1
	s_sethalt 5
	s_branch .LBB6_1583
.LBB6_1584:
	s_trap 2
	s_sendmsg_rtn_b32 s0, sendmsg(MSG_RTN_GET_DOORBELL)
	s_mov_b32 ttmp2, m0
	s_waitcnt lgkmcnt(0)
	s_and_b32 s0, s0, 0x3ff
	s_delay_alu instid0(SALU_CYCLE_1) | instskip(NEXT) | instid1(SALU_CYCLE_1)
	s_bitset1_b32 s0, 10
	s_mov_b32 m0, s0
	s_sendmsg sendmsg(MSG_INTERRUPT)
	s_mov_b32 m0, ttmp2
.LBB6_1585:                             ; =>This Inner Loop Header: Depth=1
	s_sethalt 5
	s_branch .LBB6_1585
.LBB6_1586:
	s_trap 2
	s_sendmsg_rtn_b32 s0, sendmsg(MSG_RTN_GET_DOORBELL)
	s_mov_b32 ttmp2, m0
	s_waitcnt lgkmcnt(0)
	s_and_b32 s0, s0, 0x3ff
	s_delay_alu instid0(SALU_CYCLE_1) | instskip(NEXT) | instid1(SALU_CYCLE_1)
	s_bitset1_b32 s0, 10
	s_mov_b32 m0, s0
	s_sendmsg sendmsg(MSG_INTERRUPT)
	s_mov_b32 m0, ttmp2
.LBB6_1587:                             ; =>This Inner Loop Header: Depth=1
	s_sethalt 5
	s_branch .LBB6_1587
.LBB6_1588:
	s_trap 2
	s_sendmsg_rtn_b32 s0, sendmsg(MSG_RTN_GET_DOORBELL)
	s_mov_b32 ttmp2, m0
	s_waitcnt lgkmcnt(0)
	s_and_b32 s0, s0, 0x3ff
	s_delay_alu instid0(SALU_CYCLE_1) | instskip(NEXT) | instid1(SALU_CYCLE_1)
	s_bitset1_b32 s0, 10
	s_mov_b32 m0, s0
	s_sendmsg sendmsg(MSG_INTERRUPT)
	s_mov_b32 m0, ttmp2
.LBB6_1589:                             ; =>This Inner Loop Header: Depth=1
	s_sethalt 5
	s_branch .LBB6_1589
.LBB6_1590:
	s_trap 2
	s_sendmsg_rtn_b32 s0, sendmsg(MSG_RTN_GET_DOORBELL)
	s_mov_b32 ttmp2, m0
	s_waitcnt lgkmcnt(0)
	s_and_b32 s0, s0, 0x3ff
	s_delay_alu instid0(SALU_CYCLE_1) | instskip(NEXT) | instid1(SALU_CYCLE_1)
	s_bitset1_b32 s0, 10
	s_mov_b32 m0, s0
	s_sendmsg sendmsg(MSG_INTERRUPT)
	s_mov_b32 m0, ttmp2
.LBB6_1591:                             ; =>This Inner Loop Header: Depth=1
	s_sethalt 5
	s_branch .LBB6_1591
.LBB6_1592:
	s_trap 2
	s_sendmsg_rtn_b32 s0, sendmsg(MSG_RTN_GET_DOORBELL)
	s_mov_b32 ttmp2, m0
	s_waitcnt lgkmcnt(0)
	s_and_b32 s0, s0, 0x3ff
	s_delay_alu instid0(SALU_CYCLE_1) | instskip(NEXT) | instid1(SALU_CYCLE_1)
	s_bitset1_b32 s0, 10
	s_mov_b32 m0, s0
	s_sendmsg sendmsg(MSG_INTERRUPT)
	s_mov_b32 m0, ttmp2
.LBB6_1593:                             ; =>This Inner Loop Header: Depth=1
	s_sethalt 5
	s_branch .LBB6_1593
.LBB6_1594:
	s_trap 2
	s_sendmsg_rtn_b32 s0, sendmsg(MSG_RTN_GET_DOORBELL)
	s_mov_b32 ttmp2, m0
	s_waitcnt lgkmcnt(0)
	s_and_b32 s0, s0, 0x3ff
	s_delay_alu instid0(SALU_CYCLE_1) | instskip(NEXT) | instid1(SALU_CYCLE_1)
	s_bitset1_b32 s0, 10
	s_mov_b32 m0, s0
	s_sendmsg sendmsg(MSG_INTERRUPT)
	s_mov_b32 m0, ttmp2
.LBB6_1595:                             ; =>This Inner Loop Header: Depth=1
	s_sethalt 5
	s_branch .LBB6_1595
.LBB6_1596:
	s_trap 2
	s_sendmsg_rtn_b32 s0, sendmsg(MSG_RTN_GET_DOORBELL)
	s_mov_b32 ttmp2, m0
	s_waitcnt lgkmcnt(0)
	s_and_b32 s0, s0, 0x3ff
	s_delay_alu instid0(SALU_CYCLE_1) | instskip(NEXT) | instid1(SALU_CYCLE_1)
	s_bitset1_b32 s0, 10
	s_mov_b32 m0, s0
	s_sendmsg sendmsg(MSG_INTERRUPT)
	s_mov_b32 m0, ttmp2
.LBB6_1597:                             ; =>This Inner Loop Header: Depth=1
	s_sethalt 5
	s_branch .LBB6_1597
.LBB6_1598:
	s_trap 2
	s_sendmsg_rtn_b32 s0, sendmsg(MSG_RTN_GET_DOORBELL)
	s_mov_b32 ttmp2, m0
	s_waitcnt lgkmcnt(0)
	s_and_b32 s0, s0, 0x3ff
	s_delay_alu instid0(SALU_CYCLE_1) | instskip(NEXT) | instid1(SALU_CYCLE_1)
	s_bitset1_b32 s0, 10
	s_mov_b32 m0, s0
	s_sendmsg sendmsg(MSG_INTERRUPT)
	s_mov_b32 m0, ttmp2
.LBB6_1599:                             ; =>This Inner Loop Header: Depth=1
	s_sethalt 5
	s_branch .LBB6_1599
.LBB6_1600:
	s_trap 2
	s_sendmsg_rtn_b32 s0, sendmsg(MSG_RTN_GET_DOORBELL)
	s_mov_b32 ttmp2, m0
	s_waitcnt lgkmcnt(0)
	s_and_b32 s0, s0, 0x3ff
	s_delay_alu instid0(SALU_CYCLE_1) | instskip(NEXT) | instid1(SALU_CYCLE_1)
	s_bitset1_b32 s0, 10
	s_mov_b32 m0, s0
	s_sendmsg sendmsg(MSG_INTERRUPT)
	s_mov_b32 m0, ttmp2
.LBB6_1601:                             ; =>This Inner Loop Header: Depth=1
	s_sethalt 5
	s_branch .LBB6_1601
.LBB6_1602:
	s_trap 2
	s_sendmsg_rtn_b32 s0, sendmsg(MSG_RTN_GET_DOORBELL)
	s_mov_b32 ttmp2, m0
	s_waitcnt lgkmcnt(0)
	s_and_b32 s0, s0, 0x3ff
	s_delay_alu instid0(SALU_CYCLE_1) | instskip(NEXT) | instid1(SALU_CYCLE_1)
	s_bitset1_b32 s0, 10
	s_mov_b32 m0, s0
	s_sendmsg sendmsg(MSG_INTERRUPT)
	s_mov_b32 m0, ttmp2
.LBB6_1603:                             ; =>This Inner Loop Header: Depth=1
	s_sethalt 5
	s_branch .LBB6_1603
.LBB6_1604:
	s_trap 2
	s_sendmsg_rtn_b32 s0, sendmsg(MSG_RTN_GET_DOORBELL)
	s_mov_b32 ttmp2, m0
	s_waitcnt lgkmcnt(0)
	s_and_b32 s0, s0, 0x3ff
	s_delay_alu instid0(SALU_CYCLE_1) | instskip(NEXT) | instid1(SALU_CYCLE_1)
	s_bitset1_b32 s0, 10
	s_mov_b32 m0, s0
	s_sendmsg sendmsg(MSG_INTERRUPT)
	s_mov_b32 m0, ttmp2
.LBB6_1605:                             ; =>This Inner Loop Header: Depth=1
	s_sethalt 5
	s_branch .LBB6_1605
.LBB6_1606:
	s_trap 2
	s_sendmsg_rtn_b32 s0, sendmsg(MSG_RTN_GET_DOORBELL)
	s_mov_b32 ttmp2, m0
	s_waitcnt lgkmcnt(0)
	s_and_b32 s0, s0, 0x3ff
	s_delay_alu instid0(SALU_CYCLE_1) | instskip(NEXT) | instid1(SALU_CYCLE_1)
	s_bitset1_b32 s0, 10
	s_mov_b32 m0, s0
	s_sendmsg sendmsg(MSG_INTERRUPT)
	s_mov_b32 m0, ttmp2
.LBB6_1607:                             ; =>This Inner Loop Header: Depth=1
	s_sethalt 5
	s_branch .LBB6_1607
.LBB6_1608:
	s_trap 2
	s_sendmsg_rtn_b32 s0, sendmsg(MSG_RTN_GET_DOORBELL)
	s_mov_b32 ttmp2, m0
	s_waitcnt lgkmcnt(0)
	s_and_b32 s0, s0, 0x3ff
	s_delay_alu instid0(SALU_CYCLE_1) | instskip(NEXT) | instid1(SALU_CYCLE_1)
	s_bitset1_b32 s0, 10
	s_mov_b32 m0, s0
	s_sendmsg sendmsg(MSG_INTERRUPT)
	s_mov_b32 m0, ttmp2
.LBB6_1609:                             ; =>This Inner Loop Header: Depth=1
	s_sethalt 5
	s_branch .LBB6_1609
.LBB6_1610:
	s_trap 2
	s_sendmsg_rtn_b32 s0, sendmsg(MSG_RTN_GET_DOORBELL)
	s_mov_b32 ttmp2, m0
	s_waitcnt lgkmcnt(0)
	s_and_b32 s0, s0, 0x3ff
	s_delay_alu instid0(SALU_CYCLE_1) | instskip(NEXT) | instid1(SALU_CYCLE_1)
	s_bitset1_b32 s0, 10
	s_mov_b32 m0, s0
	s_sendmsg sendmsg(MSG_INTERRUPT)
	s_mov_b32 m0, ttmp2
.LBB6_1611:                             ; =>This Inner Loop Header: Depth=1
	s_sethalt 5
	s_branch .LBB6_1611
.LBB6_1612:
	s_trap 2
	s_sendmsg_rtn_b32 s0, sendmsg(MSG_RTN_GET_DOORBELL)
	s_mov_b32 ttmp2, m0
	s_waitcnt lgkmcnt(0)
	s_and_b32 s0, s0, 0x3ff
	s_delay_alu instid0(SALU_CYCLE_1) | instskip(NEXT) | instid1(SALU_CYCLE_1)
	s_bitset1_b32 s0, 10
	s_mov_b32 m0, s0
	s_sendmsg sendmsg(MSG_INTERRUPT)
	s_mov_b32 m0, ttmp2
.LBB6_1613:                             ; =>This Inner Loop Header: Depth=1
	s_sethalt 5
	s_branch .LBB6_1613
.LBB6_1614:
	s_trap 2
	s_sendmsg_rtn_b32 s0, sendmsg(MSG_RTN_GET_DOORBELL)
	s_mov_b32 ttmp2, m0
	s_waitcnt lgkmcnt(0)
	s_and_b32 s0, s0, 0x3ff
	s_delay_alu instid0(SALU_CYCLE_1) | instskip(NEXT) | instid1(SALU_CYCLE_1)
	s_bitset1_b32 s0, 10
	s_mov_b32 m0, s0
	s_sendmsg sendmsg(MSG_INTERRUPT)
	s_mov_b32 m0, ttmp2
.LBB6_1615:                             ; =>This Inner Loop Header: Depth=1
	s_sethalt 5
	s_branch .LBB6_1615
.LBB6_1616:
	s_trap 2
	s_sendmsg_rtn_b32 s0, sendmsg(MSG_RTN_GET_DOORBELL)
	s_mov_b32 ttmp2, m0
	s_waitcnt lgkmcnt(0)
	s_and_b32 s0, s0, 0x3ff
	s_delay_alu instid0(SALU_CYCLE_1) | instskip(NEXT) | instid1(SALU_CYCLE_1)
	s_bitset1_b32 s0, 10
	s_mov_b32 m0, s0
	s_sendmsg sendmsg(MSG_INTERRUPT)
	s_mov_b32 m0, ttmp2
.LBB6_1617:                             ; =>This Inner Loop Header: Depth=1
	s_sethalt 5
	s_branch .LBB6_1617
.LBB6_1618:
	s_trap 2
	s_sendmsg_rtn_b32 s0, sendmsg(MSG_RTN_GET_DOORBELL)
	s_mov_b32 ttmp2, m0
	s_waitcnt lgkmcnt(0)
	s_and_b32 s0, s0, 0x3ff
	s_delay_alu instid0(SALU_CYCLE_1) | instskip(NEXT) | instid1(SALU_CYCLE_1)
	s_bitset1_b32 s0, 10
	s_mov_b32 m0, s0
	s_sendmsg sendmsg(MSG_INTERRUPT)
	s_mov_b32 m0, ttmp2
.LBB6_1619:                             ; =>This Inner Loop Header: Depth=1
	s_sethalt 5
	s_branch .LBB6_1619
.LBB6_1620:
	s_trap 2
	s_sendmsg_rtn_b32 s0, sendmsg(MSG_RTN_GET_DOORBELL)
	s_mov_b32 ttmp2, m0
	s_waitcnt lgkmcnt(0)
	s_and_b32 s0, s0, 0x3ff
	s_delay_alu instid0(SALU_CYCLE_1) | instskip(NEXT) | instid1(SALU_CYCLE_1)
	s_bitset1_b32 s0, 10
	s_mov_b32 m0, s0
	s_sendmsg sendmsg(MSG_INTERRUPT)
	s_mov_b32 m0, ttmp2
.LBB6_1621:                             ; =>This Inner Loop Header: Depth=1
	s_sethalt 5
	s_branch .LBB6_1621
.LBB6_1622:
	s_trap 2
	s_sendmsg_rtn_b32 s0, sendmsg(MSG_RTN_GET_DOORBELL)
	s_mov_b32 ttmp2, m0
	s_waitcnt lgkmcnt(0)
	s_and_b32 s0, s0, 0x3ff
	s_delay_alu instid0(SALU_CYCLE_1) | instskip(NEXT) | instid1(SALU_CYCLE_1)
	s_bitset1_b32 s0, 10
	s_mov_b32 m0, s0
	s_sendmsg sendmsg(MSG_INTERRUPT)
	s_mov_b32 m0, ttmp2
.LBB6_1623:                             ; =>This Inner Loop Header: Depth=1
	s_sethalt 5
	s_branch .LBB6_1623
.LBB6_1624:
	s_trap 2
	s_sendmsg_rtn_b32 s0, sendmsg(MSG_RTN_GET_DOORBELL)
	s_mov_b32 ttmp2, m0
	s_waitcnt lgkmcnt(0)
	s_and_b32 s0, s0, 0x3ff
	s_delay_alu instid0(SALU_CYCLE_1) | instskip(NEXT) | instid1(SALU_CYCLE_1)
	s_bitset1_b32 s0, 10
	s_mov_b32 m0, s0
	s_sendmsg sendmsg(MSG_INTERRUPT)
	s_mov_b32 m0, ttmp2
.LBB6_1625:                             ; =>This Inner Loop Header: Depth=1
	s_sethalt 5
	s_branch .LBB6_1625
.LBB6_1626:
	s_trap 2
	s_sendmsg_rtn_b32 s0, sendmsg(MSG_RTN_GET_DOORBELL)
	s_mov_b32 ttmp2, m0
	s_waitcnt lgkmcnt(0)
	s_and_b32 s0, s0, 0x3ff
	s_delay_alu instid0(SALU_CYCLE_1) | instskip(NEXT) | instid1(SALU_CYCLE_1)
	s_bitset1_b32 s0, 10
	s_mov_b32 m0, s0
	s_sendmsg sendmsg(MSG_INTERRUPT)
	s_mov_b32 m0, ttmp2
.LBB6_1627:                             ; =>This Inner Loop Header: Depth=1
	s_sethalt 5
	s_branch .LBB6_1627
.LBB6_1628:
	s_trap 2
	s_sendmsg_rtn_b32 s0, sendmsg(MSG_RTN_GET_DOORBELL)
	s_mov_b32 ttmp2, m0
	s_waitcnt lgkmcnt(0)
	s_and_b32 s0, s0, 0x3ff
	s_delay_alu instid0(SALU_CYCLE_1) | instskip(NEXT) | instid1(SALU_CYCLE_1)
	s_bitset1_b32 s0, 10
	s_mov_b32 m0, s0
	s_sendmsg sendmsg(MSG_INTERRUPT)
	s_mov_b32 m0, ttmp2
.LBB6_1629:                             ; =>This Inner Loop Header: Depth=1
	s_sethalt 5
	s_branch .LBB6_1629
.LBB6_1630:
	s_trap 2
	s_sendmsg_rtn_b32 s0, sendmsg(MSG_RTN_GET_DOORBELL)
	s_mov_b32 ttmp2, m0
	s_waitcnt lgkmcnt(0)
	s_and_b32 s0, s0, 0x3ff
	s_delay_alu instid0(SALU_CYCLE_1) | instskip(NEXT) | instid1(SALU_CYCLE_1)
	s_bitset1_b32 s0, 10
	s_mov_b32 m0, s0
	s_sendmsg sendmsg(MSG_INTERRUPT)
	s_mov_b32 m0, ttmp2
.LBB6_1631:                             ; =>This Inner Loop Header: Depth=1
	s_sethalt 5
	s_branch .LBB6_1631
.LBB6_1632:
	s_trap 2
	s_sendmsg_rtn_b32 s0, sendmsg(MSG_RTN_GET_DOORBELL)
	s_mov_b32 ttmp2, m0
	s_waitcnt lgkmcnt(0)
	s_and_b32 s0, s0, 0x3ff
	s_delay_alu instid0(SALU_CYCLE_1) | instskip(NEXT) | instid1(SALU_CYCLE_1)
	s_bitset1_b32 s0, 10
	s_mov_b32 m0, s0
	s_sendmsg sendmsg(MSG_INTERRUPT)
	s_mov_b32 m0, ttmp2
.LBB6_1633:                             ; =>This Inner Loop Header: Depth=1
	s_sethalt 5
	s_branch .LBB6_1633
.LBB6_1634:
	s_trap 2
	s_sendmsg_rtn_b32 s0, sendmsg(MSG_RTN_GET_DOORBELL)
	s_mov_b32 ttmp2, m0
	s_waitcnt lgkmcnt(0)
	s_and_b32 s0, s0, 0x3ff
	s_delay_alu instid0(SALU_CYCLE_1) | instskip(NEXT) | instid1(SALU_CYCLE_1)
	s_bitset1_b32 s0, 10
	s_mov_b32 m0, s0
	s_sendmsg sendmsg(MSG_INTERRUPT)
	s_mov_b32 m0, ttmp2
.LBB6_1635:                             ; =>This Inner Loop Header: Depth=1
	s_sethalt 5
	s_branch .LBB6_1635
.LBB6_1636:
	s_trap 2
	s_sendmsg_rtn_b32 s0, sendmsg(MSG_RTN_GET_DOORBELL)
	s_mov_b32 ttmp2, m0
	s_waitcnt lgkmcnt(0)
	s_and_b32 s0, s0, 0x3ff
	s_delay_alu instid0(SALU_CYCLE_1) | instskip(NEXT) | instid1(SALU_CYCLE_1)
	s_bitset1_b32 s0, 10
	s_mov_b32 m0, s0
	s_sendmsg sendmsg(MSG_INTERRUPT)
	s_mov_b32 m0, ttmp2
.LBB6_1637:                             ; =>This Inner Loop Header: Depth=1
	s_sethalt 5
	s_branch .LBB6_1637
.LBB6_1638:
	s_trap 2
	s_sendmsg_rtn_b32 s0, sendmsg(MSG_RTN_GET_DOORBELL)
	s_mov_b32 ttmp2, m0
	s_waitcnt lgkmcnt(0)
	s_and_b32 s0, s0, 0x3ff
	s_delay_alu instid0(SALU_CYCLE_1) | instskip(NEXT) | instid1(SALU_CYCLE_1)
	s_bitset1_b32 s0, 10
	s_mov_b32 m0, s0
	s_sendmsg sendmsg(MSG_INTERRUPT)
	s_mov_b32 m0, ttmp2
.LBB6_1639:                             ; =>This Inner Loop Header: Depth=1
	s_sethalt 5
	s_branch .LBB6_1639
.LBB6_1640:
	s_trap 2
	s_sendmsg_rtn_b32 s0, sendmsg(MSG_RTN_GET_DOORBELL)
	s_mov_b32 ttmp2, m0
	s_waitcnt lgkmcnt(0)
	s_and_b32 s0, s0, 0x3ff
	s_delay_alu instid0(SALU_CYCLE_1) | instskip(NEXT) | instid1(SALU_CYCLE_1)
	s_bitset1_b32 s0, 10
	s_mov_b32 m0, s0
	s_sendmsg sendmsg(MSG_INTERRUPT)
	s_mov_b32 m0, ttmp2
.LBB6_1641:                             ; =>This Inner Loop Header: Depth=1
	s_sethalt 5
	s_branch .LBB6_1641
.LBB6_1642:
	s_trap 2
	s_sendmsg_rtn_b32 s0, sendmsg(MSG_RTN_GET_DOORBELL)
	s_mov_b32 ttmp2, m0
	s_waitcnt lgkmcnt(0)
	s_and_b32 s0, s0, 0x3ff
	s_delay_alu instid0(SALU_CYCLE_1) | instskip(NEXT) | instid1(SALU_CYCLE_1)
	s_bitset1_b32 s0, 10
	s_mov_b32 m0, s0
	s_sendmsg sendmsg(MSG_INTERRUPT)
	s_mov_b32 m0, ttmp2
.LBB6_1643:                             ; =>This Inner Loop Header: Depth=1
	s_sethalt 5
	s_branch .LBB6_1643
.LBB6_1644:
	s_trap 2
	s_sendmsg_rtn_b32 s0, sendmsg(MSG_RTN_GET_DOORBELL)
	s_mov_b32 ttmp2, m0
	s_waitcnt lgkmcnt(0)
	s_and_b32 s0, s0, 0x3ff
	s_delay_alu instid0(SALU_CYCLE_1) | instskip(NEXT) | instid1(SALU_CYCLE_1)
	s_bitset1_b32 s0, 10
	s_mov_b32 m0, s0
	s_sendmsg sendmsg(MSG_INTERRUPT)
	s_mov_b32 m0, ttmp2
.LBB6_1645:                             ; =>This Inner Loop Header: Depth=1
	s_sethalt 5
	s_branch .LBB6_1645
.LBB6_1646:
	s_or_b32 exec_lo, exec_lo, s4
	s_and_saveexec_b32 s4, s5
	s_delay_alu instid0(SALU_CYCLE_1)
	s_xor_b32 s4, exec_lo, s4
	s_cbranch_execz .LBB6_1648
; %bb.1647:
	v_mov_b32_e32 v0, 1
	ds_store_b32 v0, v0
	s_cbranch_execnz .LBB6_1740
.LBB6_1648:
	s_or_b32 exec_lo, exec_lo, s3
	;;#ASMSTART
	s_wakeup
	;;#ASMEND
.LBB6_1649:
	s_or_b32 exec_lo, exec_lo, s2
.LBB6_1650:
	s_and_not1_saveexec_b32 s1, s1
	s_cbranch_execz .LBB6_1652
; %bb.1651:
	s_waitcnt lgkmcnt(0)
	s_waitcnt_vscnt null, 0x0
	buffer_gl1_inv
	buffer_gl0_inv
	s_barrier
.LBB6_1652:
	s_or_b32 exec_lo, exec_lo, s0
.LBB6_1653:
	s_and_not1_saveexec_b32 s21, s30
	s_cbranch_execz .LBB6_1655
; %bb.1654:
	s_getpc_b64 s[0:1]
	s_add_u32 s0, s0, __PRETTY_FUNCTION__._ZN10PrimitivesIh14FuncSumPostDivIhE12FanSymmetricILi1EELi0E11ProtoSimpleILi2ELi2ELi0ELi4ELi0ELi0EELi0ELb0ELi0ELi0ELi0EEC2EiiPKiS8_PKvPvmhhhP15ncclDevWorkCollP14ncclDevWorkP2pii@rel32@lo+4
	s_addc_u32 s1, s1, __PRETTY_FUNCTION__._ZN10PrimitivesIh14FuncSumPostDivIhE12FanSymmetricILi1EELi0E11ProtoSimpleILi2ELi2ELi0ELi4ELi0ELi0EELi0ELb0ELi0ELi0ELi0EEC2EiiPKiS8_PKvPvmhhhP15ncclDevWorkCollP14ncclDevWorkP2pii@rel32@hi+12
	s_delay_alu instid0(SALU_CYCLE_1) | instskip(SKIP_3) | instid1(SALU_CYCLE_1)
	v_dual_mov_b32 v0, s0 :: v_dual_mov_b32 v1, s1
	s_getpc_b64 s[2:3]
	s_add_u32 s2, s2, __assert_fail@rel32@lo+4
	s_addc_u32 s3, s3, __assert_fail@rel32@hi+12
	s_swappc_b64 s[30:31], s[2:3]
	; divergent unreachable
.LBB6_1655:
	s_or_b32 exec_lo, exec_lo, s21
	s_clause 0x1f
	scratch_load_b32 v171, off, s33
	scratch_load_b32 v170, off, s33 offset:4
	scratch_load_b32 v169, off, s33 offset:8
	;; [unrolled: 1-line block ×31, first 2 shown]
	s_clause 0x1f
	scratch_load_b32 v107, off, s33 offset:128
	scratch_load_b32 v106, off, s33 offset:132
	scratch_load_b32 v105, off, s33 offset:136
	scratch_load_b32 v104, off, s33 offset:140
	scratch_load_b32 v95, off, s33 offset:144
	scratch_load_b32 v94, off, s33 offset:148
	scratch_load_b32 v93, off, s33 offset:152
	scratch_load_b32 v92, off, s33 offset:156
	scratch_load_b32 v91, off, s33 offset:160
	scratch_load_b32 v90, off, s33 offset:164
	scratch_load_b32 v89, off, s33 offset:168
	scratch_load_b32 v88, off, s33 offset:172
	scratch_load_b32 v79, off, s33 offset:176
	scratch_load_b32 v78, off, s33 offset:180
	scratch_load_b32 v77, off, s33 offset:184
	scratch_load_b32 v76, off, s33 offset:188
	scratch_load_b32 v75, off, s33 offset:192
	scratch_load_b32 v74, off, s33 offset:196
	scratch_load_b32 v73, off, s33 offset:200
	scratch_load_b32 v72, off, s33 offset:204
	scratch_load_b32 v63, off, s33 offset:208
	scratch_load_b32 v62, off, s33 offset:212
	scratch_load_b32 v61, off, s33 offset:216
	scratch_load_b32 v60, off, s33 offset:220
	scratch_load_b32 v59, off, s33 offset:224
	scratch_load_b32 v58, off, s33 offset:228
	scratch_load_b32 v57, off, s33 offset:232
	scratch_load_b32 v56, off, s33 offset:236
	scratch_load_b32 v47, off, s33 offset:240
	scratch_load_b32 v46, off, s33 offset:244
	scratch_load_b32 v45, off, s33 offset:248
	scratch_load_b32 v44, off, s33 offset:252
	s_clause 0x3
	scratch_load_b32 v43, off, s33 offset:256
	scratch_load_b32 v42, off, s33 offset:260
	;; [unrolled: 1-line block ×4, first 2 shown]
	v_readlane_b32 s30, v172, 20
	v_readlane_b32 s31, v172, 21
	;; [unrolled: 1-line block ×23, first 2 shown]
	s_or_saveexec_b32 s1, -1
	s_clause 0x1
	scratch_load_b32 v172, off, s33 offset:272
	scratch_load_b32 v173, off, s33 offset:276
	s_mov_b32 exec_lo, s1
	s_addk_i32 s32, 0xfee0
	s_mov_b32 s33, s0
	s_waitcnt vmcnt(0) lgkmcnt(0)
	s_setpc_b64 s[30:31]
.LBB6_1656:
	s_trap 2
	s_sendmsg_rtn_b32 s0, sendmsg(MSG_RTN_GET_DOORBELL)
	s_mov_b32 ttmp2, m0
	s_waitcnt lgkmcnt(0)
	s_and_b32 s0, s0, 0x3ff
	s_delay_alu instid0(SALU_CYCLE_1) | instskip(NEXT) | instid1(SALU_CYCLE_1)
	s_bitset1_b32 s0, 10
	s_mov_b32 m0, s0
	s_sendmsg sendmsg(MSG_INTERRUPT)
	s_mov_b32 m0, ttmp2
.LBB6_1657:                             ; =>This Inner Loop Header: Depth=1
	s_sethalt 5
	s_branch .LBB6_1657
.LBB6_1658:
	s_trap 2
	s_sendmsg_rtn_b32 s0, sendmsg(MSG_RTN_GET_DOORBELL)
	s_mov_b32 ttmp2, m0
	s_waitcnt lgkmcnt(0)
	s_and_b32 s0, s0, 0x3ff
	s_delay_alu instid0(SALU_CYCLE_1) | instskip(NEXT) | instid1(SALU_CYCLE_1)
	s_bitset1_b32 s0, 10
	s_mov_b32 m0, s0
	s_sendmsg sendmsg(MSG_INTERRUPT)
	s_mov_b32 m0, ttmp2
.LBB6_1659:                             ; =>This Inner Loop Header: Depth=1
	s_sethalt 5
	s_branch .LBB6_1659
.LBB6_1660:
	s_trap 2
	s_sendmsg_rtn_b32 s0, sendmsg(MSG_RTN_GET_DOORBELL)
	s_mov_b32 ttmp2, m0
	s_waitcnt lgkmcnt(0)
	s_and_b32 s0, s0, 0x3ff
	s_delay_alu instid0(SALU_CYCLE_1) | instskip(NEXT) | instid1(SALU_CYCLE_1)
	s_bitset1_b32 s0, 10
	s_mov_b32 m0, s0
	s_sendmsg sendmsg(MSG_INTERRUPT)
	s_mov_b32 m0, ttmp2
.LBB6_1661:                             ; =>This Inner Loop Header: Depth=1
	s_sethalt 5
	s_branch .LBB6_1661
.LBB6_1662:
	s_trap 2
	s_sendmsg_rtn_b32 s0, sendmsg(MSG_RTN_GET_DOORBELL)
	s_mov_b32 ttmp2, m0
	s_waitcnt lgkmcnt(0)
	s_and_b32 s0, s0, 0x3ff
	s_delay_alu instid0(SALU_CYCLE_1) | instskip(NEXT) | instid1(SALU_CYCLE_1)
	s_bitset1_b32 s0, 10
	s_mov_b32 m0, s0
	s_sendmsg sendmsg(MSG_INTERRUPT)
	s_mov_b32 m0, ttmp2
.LBB6_1663:                             ; =>This Inner Loop Header: Depth=1
	s_sethalt 5
	s_branch .LBB6_1663
.LBB6_1664:
	s_trap 2
	s_sendmsg_rtn_b32 s0, sendmsg(MSG_RTN_GET_DOORBELL)
	s_mov_b32 ttmp2, m0
	s_waitcnt lgkmcnt(0)
	s_and_b32 s0, s0, 0x3ff
	s_delay_alu instid0(SALU_CYCLE_1) | instskip(NEXT) | instid1(SALU_CYCLE_1)
	s_bitset1_b32 s0, 10
	s_mov_b32 m0, s0
	s_sendmsg sendmsg(MSG_INTERRUPT)
	s_mov_b32 m0, ttmp2
.LBB6_1665:                             ; =>This Inner Loop Header: Depth=1
	s_sethalt 5
	s_branch .LBB6_1665
.LBB6_1666:
	s_trap 2
	s_sendmsg_rtn_b32 s0, sendmsg(MSG_RTN_GET_DOORBELL)
	s_mov_b32 ttmp2, m0
	s_waitcnt lgkmcnt(0)
	s_and_b32 s0, s0, 0x3ff
	s_delay_alu instid0(SALU_CYCLE_1) | instskip(NEXT) | instid1(SALU_CYCLE_1)
	s_bitset1_b32 s0, 10
	s_mov_b32 m0, s0
	s_sendmsg sendmsg(MSG_INTERRUPT)
	s_mov_b32 m0, ttmp2
.LBB6_1667:                             ; =>This Inner Loop Header: Depth=1
	s_sethalt 5
	s_branch .LBB6_1667
.LBB6_1668:
	s_trap 2
	s_sendmsg_rtn_b32 s0, sendmsg(MSG_RTN_GET_DOORBELL)
	s_mov_b32 ttmp2, m0
	s_waitcnt lgkmcnt(0)
	s_and_b32 s0, s0, 0x3ff
	s_delay_alu instid0(SALU_CYCLE_1) | instskip(NEXT) | instid1(SALU_CYCLE_1)
	s_bitset1_b32 s0, 10
	s_mov_b32 m0, s0
	s_sendmsg sendmsg(MSG_INTERRUPT)
	s_mov_b32 m0, ttmp2
.LBB6_1669:                             ; =>This Inner Loop Header: Depth=1
	s_sethalt 5
	s_branch .LBB6_1669
.LBB6_1670:
	s_trap 2
	s_sendmsg_rtn_b32 s0, sendmsg(MSG_RTN_GET_DOORBELL)
	s_mov_b32 ttmp2, m0
	s_waitcnt lgkmcnt(0)
	s_and_b32 s0, s0, 0x3ff
	s_delay_alu instid0(SALU_CYCLE_1) | instskip(NEXT) | instid1(SALU_CYCLE_1)
	s_bitset1_b32 s0, 10
	s_mov_b32 m0, s0
	s_sendmsg sendmsg(MSG_INTERRUPT)
	s_mov_b32 m0, ttmp2
.LBB6_1671:                             ; =>This Inner Loop Header: Depth=1
	s_sethalt 5
	s_branch .LBB6_1671
.LBB6_1672:
	s_trap 2
	s_sendmsg_rtn_b32 s0, sendmsg(MSG_RTN_GET_DOORBELL)
	s_mov_b32 ttmp2, m0
	s_waitcnt lgkmcnt(0)
	s_and_b32 s0, s0, 0x3ff
	s_delay_alu instid0(SALU_CYCLE_1) | instskip(NEXT) | instid1(SALU_CYCLE_1)
	s_bitset1_b32 s0, 10
	s_mov_b32 m0, s0
	s_sendmsg sendmsg(MSG_INTERRUPT)
	s_mov_b32 m0, ttmp2
.LBB6_1673:                             ; =>This Inner Loop Header: Depth=1
	s_sethalt 5
	s_branch .LBB6_1673
.LBB6_1674:
	s_trap 2
	s_sendmsg_rtn_b32 s0, sendmsg(MSG_RTN_GET_DOORBELL)
	s_mov_b32 ttmp2, m0
	s_waitcnt lgkmcnt(0)
	s_and_b32 s0, s0, 0x3ff
	s_delay_alu instid0(SALU_CYCLE_1) | instskip(NEXT) | instid1(SALU_CYCLE_1)
	s_bitset1_b32 s0, 10
	s_mov_b32 m0, s0
	s_sendmsg sendmsg(MSG_INTERRUPT)
	s_mov_b32 m0, ttmp2
.LBB6_1675:                             ; =>This Inner Loop Header: Depth=1
	s_sethalt 5
	s_branch .LBB6_1675
.LBB6_1676:
	s_trap 2
	s_sendmsg_rtn_b32 s0, sendmsg(MSG_RTN_GET_DOORBELL)
	s_mov_b32 ttmp2, m0
	s_waitcnt lgkmcnt(0)
	s_and_b32 s0, s0, 0x3ff
	s_delay_alu instid0(SALU_CYCLE_1) | instskip(NEXT) | instid1(SALU_CYCLE_1)
	s_bitset1_b32 s0, 10
	s_mov_b32 m0, s0
	s_sendmsg sendmsg(MSG_INTERRUPT)
	s_mov_b32 m0, ttmp2
.LBB6_1677:                             ; =>This Inner Loop Header: Depth=1
	s_sethalt 5
	s_branch .LBB6_1677
.LBB6_1678:
	s_trap 2
	s_sendmsg_rtn_b32 s0, sendmsg(MSG_RTN_GET_DOORBELL)
	s_mov_b32 ttmp2, m0
	s_waitcnt lgkmcnt(0)
	s_and_b32 s0, s0, 0x3ff
	s_delay_alu instid0(SALU_CYCLE_1) | instskip(NEXT) | instid1(SALU_CYCLE_1)
	s_bitset1_b32 s0, 10
	s_mov_b32 m0, s0
	s_sendmsg sendmsg(MSG_INTERRUPT)
	s_mov_b32 m0, ttmp2
.LBB6_1679:                             ; =>This Inner Loop Header: Depth=1
	s_sethalt 5
	s_branch .LBB6_1679
.LBB6_1680:
	s_trap 2
	s_sendmsg_rtn_b32 s0, sendmsg(MSG_RTN_GET_DOORBELL)
	s_mov_b32 ttmp2, m0
	s_waitcnt lgkmcnt(0)
	s_and_b32 s0, s0, 0x3ff
	s_delay_alu instid0(SALU_CYCLE_1) | instskip(NEXT) | instid1(SALU_CYCLE_1)
	s_bitset1_b32 s0, 10
	s_mov_b32 m0, s0
	s_sendmsg sendmsg(MSG_INTERRUPT)
	s_mov_b32 m0, ttmp2
.LBB6_1681:                             ; =>This Inner Loop Header: Depth=1
	s_sethalt 5
	s_branch .LBB6_1681
.LBB6_1682:
	s_trap 2
	s_sendmsg_rtn_b32 s0, sendmsg(MSG_RTN_GET_DOORBELL)
	s_mov_b32 ttmp2, m0
	s_waitcnt lgkmcnt(0)
	s_and_b32 s0, s0, 0x3ff
	s_delay_alu instid0(SALU_CYCLE_1) | instskip(NEXT) | instid1(SALU_CYCLE_1)
	s_bitset1_b32 s0, 10
	s_mov_b32 m0, s0
	s_sendmsg sendmsg(MSG_INTERRUPT)
	s_mov_b32 m0, ttmp2
.LBB6_1683:                             ; =>This Inner Loop Header: Depth=1
	s_sethalt 5
	s_branch .LBB6_1683
.LBB6_1684:
	s_trap 2
	s_sendmsg_rtn_b32 s0, sendmsg(MSG_RTN_GET_DOORBELL)
	s_mov_b32 ttmp2, m0
	s_waitcnt lgkmcnt(0)
	s_and_b32 s0, s0, 0x3ff
	s_delay_alu instid0(SALU_CYCLE_1) | instskip(NEXT) | instid1(SALU_CYCLE_1)
	s_bitset1_b32 s0, 10
	s_mov_b32 m0, s0
	s_sendmsg sendmsg(MSG_INTERRUPT)
	s_mov_b32 m0, ttmp2
.LBB6_1685:                             ; =>This Inner Loop Header: Depth=1
	s_sethalt 5
	s_branch .LBB6_1685
.LBB6_1686:
	s_trap 2
	s_sendmsg_rtn_b32 s0, sendmsg(MSG_RTN_GET_DOORBELL)
	s_mov_b32 ttmp2, m0
	s_waitcnt lgkmcnt(0)
	s_and_b32 s0, s0, 0x3ff
	s_delay_alu instid0(SALU_CYCLE_1) | instskip(NEXT) | instid1(SALU_CYCLE_1)
	s_bitset1_b32 s0, 10
	s_mov_b32 m0, s0
	s_sendmsg sendmsg(MSG_INTERRUPT)
	s_mov_b32 m0, ttmp2
.LBB6_1687:                             ; =>This Inner Loop Header: Depth=1
	s_sethalt 5
	s_branch .LBB6_1687
.LBB6_1688:
	s_trap 2
	s_sendmsg_rtn_b32 s0, sendmsg(MSG_RTN_GET_DOORBELL)
	s_mov_b32 ttmp2, m0
	s_waitcnt lgkmcnt(0)
	s_and_b32 s0, s0, 0x3ff
	s_delay_alu instid0(SALU_CYCLE_1) | instskip(NEXT) | instid1(SALU_CYCLE_1)
	s_bitset1_b32 s0, 10
	s_mov_b32 m0, s0
	s_sendmsg sendmsg(MSG_INTERRUPT)
	s_mov_b32 m0, ttmp2
.LBB6_1689:                             ; =>This Inner Loop Header: Depth=1
	s_sethalt 5
	s_branch .LBB6_1689
.LBB6_1690:
	s_trap 2
	s_sendmsg_rtn_b32 s0, sendmsg(MSG_RTN_GET_DOORBELL)
	s_mov_b32 ttmp2, m0
	s_waitcnt lgkmcnt(0)
	s_and_b32 s0, s0, 0x3ff
	s_delay_alu instid0(SALU_CYCLE_1) | instskip(NEXT) | instid1(SALU_CYCLE_1)
	s_bitset1_b32 s0, 10
	s_mov_b32 m0, s0
	s_sendmsg sendmsg(MSG_INTERRUPT)
	s_mov_b32 m0, ttmp2
.LBB6_1691:                             ; =>This Inner Loop Header: Depth=1
	s_sethalt 5
	s_branch .LBB6_1691
.LBB6_1692:
	s_trap 2
	s_sendmsg_rtn_b32 s0, sendmsg(MSG_RTN_GET_DOORBELL)
	s_mov_b32 ttmp2, m0
	s_waitcnt lgkmcnt(0)
	s_and_b32 s0, s0, 0x3ff
	s_delay_alu instid0(SALU_CYCLE_1) | instskip(NEXT) | instid1(SALU_CYCLE_1)
	s_bitset1_b32 s0, 10
	s_mov_b32 m0, s0
	s_sendmsg sendmsg(MSG_INTERRUPT)
	s_mov_b32 m0, ttmp2
.LBB6_1693:                             ; =>This Inner Loop Header: Depth=1
	s_sethalt 5
	s_branch .LBB6_1693
.LBB6_1694:
	s_trap 2
	s_sendmsg_rtn_b32 s0, sendmsg(MSG_RTN_GET_DOORBELL)
	s_mov_b32 ttmp2, m0
	s_waitcnt lgkmcnt(0)
	s_and_b32 s0, s0, 0x3ff
	s_delay_alu instid0(SALU_CYCLE_1) | instskip(NEXT) | instid1(SALU_CYCLE_1)
	s_bitset1_b32 s0, 10
	s_mov_b32 m0, s0
	s_sendmsg sendmsg(MSG_INTERRUPT)
	s_mov_b32 m0, ttmp2
.LBB6_1695:                             ; =>This Inner Loop Header: Depth=1
	s_sethalt 5
	s_branch .LBB6_1695
.LBB6_1696:
	s_trap 2
	s_sendmsg_rtn_b32 s0, sendmsg(MSG_RTN_GET_DOORBELL)
	s_mov_b32 ttmp2, m0
	s_waitcnt lgkmcnt(0)
	s_and_b32 s0, s0, 0x3ff
	s_delay_alu instid0(SALU_CYCLE_1) | instskip(NEXT) | instid1(SALU_CYCLE_1)
	s_bitset1_b32 s0, 10
	s_mov_b32 m0, s0
	s_sendmsg sendmsg(MSG_INTERRUPT)
	s_mov_b32 m0, ttmp2
.LBB6_1697:                             ; =>This Inner Loop Header: Depth=1
	s_sethalt 5
	s_branch .LBB6_1697
.LBB6_1698:
	s_trap 2
	s_sendmsg_rtn_b32 s0, sendmsg(MSG_RTN_GET_DOORBELL)
	s_mov_b32 ttmp2, m0
	s_waitcnt lgkmcnt(0)
	s_and_b32 s0, s0, 0x3ff
	s_delay_alu instid0(SALU_CYCLE_1) | instskip(NEXT) | instid1(SALU_CYCLE_1)
	s_bitset1_b32 s0, 10
	s_mov_b32 m0, s0
	s_sendmsg sendmsg(MSG_INTERRUPT)
	s_mov_b32 m0, ttmp2
.LBB6_1699:                             ; =>This Inner Loop Header: Depth=1
	s_sethalt 5
	s_branch .LBB6_1699
.LBB6_1700:
	s_trap 2
	s_sendmsg_rtn_b32 s0, sendmsg(MSG_RTN_GET_DOORBELL)
	s_mov_b32 ttmp2, m0
	s_waitcnt lgkmcnt(0)
	s_and_b32 s0, s0, 0x3ff
	s_delay_alu instid0(SALU_CYCLE_1) | instskip(NEXT) | instid1(SALU_CYCLE_1)
	s_bitset1_b32 s0, 10
	s_mov_b32 m0, s0
	s_sendmsg sendmsg(MSG_INTERRUPT)
	s_mov_b32 m0, ttmp2
.LBB6_1701:                             ; =>This Inner Loop Header: Depth=1
	s_sethalt 5
	s_branch .LBB6_1701
.LBB6_1702:
	s_trap 2
	s_sendmsg_rtn_b32 s0, sendmsg(MSG_RTN_GET_DOORBELL)
	s_mov_b32 ttmp2, m0
	s_waitcnt lgkmcnt(0)
	s_and_b32 s0, s0, 0x3ff
	s_delay_alu instid0(SALU_CYCLE_1) | instskip(NEXT) | instid1(SALU_CYCLE_1)
	s_bitset1_b32 s0, 10
	s_mov_b32 m0, s0
	s_sendmsg sendmsg(MSG_INTERRUPT)
	s_mov_b32 m0, ttmp2
.LBB6_1703:                             ; =>This Inner Loop Header: Depth=1
	s_sethalt 5
	s_branch .LBB6_1703
.LBB6_1704:
	s_trap 2
	s_sendmsg_rtn_b32 s0, sendmsg(MSG_RTN_GET_DOORBELL)
	s_mov_b32 ttmp2, m0
	s_waitcnt lgkmcnt(0)
	s_and_b32 s0, s0, 0x3ff
	s_delay_alu instid0(SALU_CYCLE_1) | instskip(NEXT) | instid1(SALU_CYCLE_1)
	s_bitset1_b32 s0, 10
	s_mov_b32 m0, s0
	s_sendmsg sendmsg(MSG_INTERRUPT)
	s_mov_b32 m0, ttmp2
.LBB6_1705:                             ; =>This Inner Loop Header: Depth=1
	s_sethalt 5
	s_branch .LBB6_1705
.LBB6_1706:
	s_trap 2
	s_sendmsg_rtn_b32 s0, sendmsg(MSG_RTN_GET_DOORBELL)
	s_mov_b32 ttmp2, m0
	s_waitcnt lgkmcnt(0)
	s_and_b32 s0, s0, 0x3ff
	s_delay_alu instid0(SALU_CYCLE_1) | instskip(NEXT) | instid1(SALU_CYCLE_1)
	s_bitset1_b32 s0, 10
	s_mov_b32 m0, s0
	s_sendmsg sendmsg(MSG_INTERRUPT)
	s_mov_b32 m0, ttmp2
.LBB6_1707:                             ; =>This Inner Loop Header: Depth=1
	s_sethalt 5
	s_branch .LBB6_1707
.LBB6_1708:
	s_trap 2
	s_sendmsg_rtn_b32 s0, sendmsg(MSG_RTN_GET_DOORBELL)
	s_mov_b32 ttmp2, m0
	s_waitcnt lgkmcnt(0)
	s_and_b32 s0, s0, 0x3ff
	s_delay_alu instid0(SALU_CYCLE_1) | instskip(NEXT) | instid1(SALU_CYCLE_1)
	s_bitset1_b32 s0, 10
	s_mov_b32 m0, s0
	s_sendmsg sendmsg(MSG_INTERRUPT)
	s_mov_b32 m0, ttmp2
.LBB6_1709:                             ; =>This Inner Loop Header: Depth=1
	s_sethalt 5
	s_branch .LBB6_1709
.LBB6_1710:
	s_trap 2
	s_sendmsg_rtn_b32 s0, sendmsg(MSG_RTN_GET_DOORBELL)
	s_mov_b32 ttmp2, m0
	s_waitcnt lgkmcnt(0)
	s_and_b32 s0, s0, 0x3ff
	s_delay_alu instid0(SALU_CYCLE_1) | instskip(NEXT) | instid1(SALU_CYCLE_1)
	s_bitset1_b32 s0, 10
	s_mov_b32 m0, s0
	s_sendmsg sendmsg(MSG_INTERRUPT)
	s_mov_b32 m0, ttmp2
.LBB6_1711:                             ; =>This Inner Loop Header: Depth=1
	s_sethalt 5
	s_branch .LBB6_1711
.LBB6_1712:
	s_trap 2
	s_sendmsg_rtn_b32 s0, sendmsg(MSG_RTN_GET_DOORBELL)
	s_mov_b32 ttmp2, m0
	s_waitcnt lgkmcnt(0)
	s_and_b32 s0, s0, 0x3ff
	s_delay_alu instid0(SALU_CYCLE_1) | instskip(NEXT) | instid1(SALU_CYCLE_1)
	s_bitset1_b32 s0, 10
	s_mov_b32 m0, s0
	s_sendmsg sendmsg(MSG_INTERRUPT)
	s_mov_b32 m0, ttmp2
.LBB6_1713:                             ; =>This Inner Loop Header: Depth=1
	s_sethalt 5
	s_branch .LBB6_1713
.LBB6_1714:
	s_trap 2
	s_sendmsg_rtn_b32 s0, sendmsg(MSG_RTN_GET_DOORBELL)
	s_mov_b32 ttmp2, m0
	s_waitcnt lgkmcnt(0)
	s_and_b32 s0, s0, 0x3ff
	s_delay_alu instid0(SALU_CYCLE_1) | instskip(NEXT) | instid1(SALU_CYCLE_1)
	s_bitset1_b32 s0, 10
	s_mov_b32 m0, s0
	s_sendmsg sendmsg(MSG_INTERRUPT)
	s_mov_b32 m0, ttmp2
.LBB6_1715:                             ; =>This Inner Loop Header: Depth=1
	s_sethalt 5
	s_branch .LBB6_1715
.LBB6_1716:
	s_trap 2
	s_sendmsg_rtn_b32 s0, sendmsg(MSG_RTN_GET_DOORBELL)
	s_mov_b32 ttmp2, m0
	s_waitcnt lgkmcnt(0)
	s_and_b32 s0, s0, 0x3ff
	s_delay_alu instid0(SALU_CYCLE_1) | instskip(NEXT) | instid1(SALU_CYCLE_1)
	s_bitset1_b32 s0, 10
	s_mov_b32 m0, s0
	s_sendmsg sendmsg(MSG_INTERRUPT)
	s_mov_b32 m0, ttmp2
.LBB6_1717:                             ; =>This Inner Loop Header: Depth=1
	s_sethalt 5
	s_branch .LBB6_1717
.LBB6_1718:
	s_trap 2
	s_sendmsg_rtn_b32 s0, sendmsg(MSG_RTN_GET_DOORBELL)
	s_mov_b32 ttmp2, m0
	s_waitcnt lgkmcnt(0)
	s_and_b32 s0, s0, 0x3ff
	s_delay_alu instid0(SALU_CYCLE_1) | instskip(NEXT) | instid1(SALU_CYCLE_1)
	s_bitset1_b32 s0, 10
	s_mov_b32 m0, s0
	s_sendmsg sendmsg(MSG_INTERRUPT)
	s_mov_b32 m0, ttmp2
.LBB6_1719:                             ; =>This Inner Loop Header: Depth=1
	s_sethalt 5
	s_branch .LBB6_1719
.LBB6_1720:
	s_trap 2
	s_sendmsg_rtn_b32 s0, sendmsg(MSG_RTN_GET_DOORBELL)
	s_mov_b32 ttmp2, m0
	s_waitcnt lgkmcnt(0)
	s_and_b32 s0, s0, 0x3ff
	s_delay_alu instid0(SALU_CYCLE_1) | instskip(NEXT) | instid1(SALU_CYCLE_1)
	s_bitset1_b32 s0, 10
	s_mov_b32 m0, s0
	s_sendmsg sendmsg(MSG_INTERRUPT)
	s_mov_b32 m0, ttmp2
.LBB6_1721:                             ; =>This Inner Loop Header: Depth=1
	s_sethalt 5
	s_branch .LBB6_1721
.LBB6_1722:
	s_trap 2
	s_sendmsg_rtn_b32 s0, sendmsg(MSG_RTN_GET_DOORBELL)
	s_mov_b32 ttmp2, m0
	s_waitcnt lgkmcnt(0)
	s_and_b32 s0, s0, 0x3ff
	s_delay_alu instid0(SALU_CYCLE_1) | instskip(NEXT) | instid1(SALU_CYCLE_1)
	s_bitset1_b32 s0, 10
	s_mov_b32 m0, s0
	s_sendmsg sendmsg(MSG_INTERRUPT)
	s_mov_b32 m0, ttmp2
.LBB6_1723:                             ; =>This Inner Loop Header: Depth=1
	s_sethalt 5
	s_branch .LBB6_1723
.LBB6_1724:
	s_trap 2
	s_sendmsg_rtn_b32 s0, sendmsg(MSG_RTN_GET_DOORBELL)
	s_mov_b32 ttmp2, m0
	s_waitcnt lgkmcnt(0)
	s_and_b32 s0, s0, 0x3ff
	s_delay_alu instid0(SALU_CYCLE_1) | instskip(NEXT) | instid1(SALU_CYCLE_1)
	s_bitset1_b32 s0, 10
	s_mov_b32 m0, s0
	s_sendmsg sendmsg(MSG_INTERRUPT)
	s_mov_b32 m0, ttmp2
.LBB6_1725:                             ; =>This Inner Loop Header: Depth=1
	s_sethalt 5
	s_branch .LBB6_1725
.LBB6_1726:
	s_trap 2
	s_sendmsg_rtn_b32 s0, sendmsg(MSG_RTN_GET_DOORBELL)
	s_mov_b32 ttmp2, m0
	s_waitcnt lgkmcnt(0)
	s_and_b32 s0, s0, 0x3ff
	s_delay_alu instid0(SALU_CYCLE_1) | instskip(NEXT) | instid1(SALU_CYCLE_1)
	s_bitset1_b32 s0, 10
	s_mov_b32 m0, s0
	s_sendmsg sendmsg(MSG_INTERRUPT)
	s_mov_b32 m0, ttmp2
.LBB6_1727:                             ; =>This Inner Loop Header: Depth=1
	s_sethalt 5
	s_branch .LBB6_1727
.LBB6_1728:
	s_trap 2
	s_sendmsg_rtn_b32 s0, sendmsg(MSG_RTN_GET_DOORBELL)
	s_mov_b32 ttmp2, m0
	s_waitcnt lgkmcnt(0)
	s_and_b32 s0, s0, 0x3ff
	s_delay_alu instid0(SALU_CYCLE_1) | instskip(NEXT) | instid1(SALU_CYCLE_1)
	s_bitset1_b32 s0, 10
	s_mov_b32 m0, s0
	s_sendmsg sendmsg(MSG_INTERRUPT)
	s_mov_b32 m0, ttmp2
.LBB6_1729:                             ; =>This Inner Loop Header: Depth=1
	s_sethalt 5
	s_branch .LBB6_1729
.LBB6_1730:
	s_trap 2
	s_sendmsg_rtn_b32 s0, sendmsg(MSG_RTN_GET_DOORBELL)
	s_mov_b32 ttmp2, m0
	s_waitcnt lgkmcnt(0)
	s_and_b32 s0, s0, 0x3ff
	s_delay_alu instid0(SALU_CYCLE_1) | instskip(NEXT) | instid1(SALU_CYCLE_1)
	s_bitset1_b32 s0, 10
	s_mov_b32 m0, s0
	s_sendmsg sendmsg(MSG_INTERRUPT)
	s_mov_b32 m0, ttmp2
.LBB6_1731:                             ; =>This Inner Loop Header: Depth=1
	s_sethalt 5
	s_branch .LBB6_1731
.LBB6_1732:
	s_trap 2
	s_sendmsg_rtn_b32 s0, sendmsg(MSG_RTN_GET_DOORBELL)
	s_mov_b32 ttmp2, m0
	s_waitcnt lgkmcnt(0)
	s_and_b32 s0, s0, 0x3ff
	s_delay_alu instid0(SALU_CYCLE_1) | instskip(NEXT) | instid1(SALU_CYCLE_1)
	s_bitset1_b32 s0, 10
	s_mov_b32 m0, s0
	s_sendmsg sendmsg(MSG_INTERRUPT)
	s_mov_b32 m0, ttmp2
.LBB6_1733:                             ; =>This Inner Loop Header: Depth=1
	s_sethalt 5
	s_branch .LBB6_1733
.LBB6_1734:
	s_trap 2
	s_sendmsg_rtn_b32 s0, sendmsg(MSG_RTN_GET_DOORBELL)
	s_mov_b32 ttmp2, m0
	s_waitcnt lgkmcnt(0)
	s_and_b32 s0, s0, 0x3ff
	s_delay_alu instid0(SALU_CYCLE_1) | instskip(NEXT) | instid1(SALU_CYCLE_1)
	s_bitset1_b32 s0, 10
	s_mov_b32 m0, s0
	s_sendmsg sendmsg(MSG_INTERRUPT)
	s_mov_b32 m0, ttmp2
.LBB6_1735:                             ; =>This Inner Loop Header: Depth=1
	s_sethalt 5
	s_branch .LBB6_1735
.LBB6_1736:
	s_trap 2
	s_sendmsg_rtn_b32 s0, sendmsg(MSG_RTN_GET_DOORBELL)
	s_mov_b32 ttmp2, m0
	s_waitcnt lgkmcnt(0)
	s_and_b32 s0, s0, 0x3ff
	s_delay_alu instid0(SALU_CYCLE_1) | instskip(NEXT) | instid1(SALU_CYCLE_1)
	s_bitset1_b32 s0, 10
	s_mov_b32 m0, s0
	s_sendmsg sendmsg(MSG_INTERRUPT)
	s_mov_b32 m0, ttmp2
.LBB6_1737:                             ; =>This Inner Loop Header: Depth=1
	s_sethalt 5
	s_branch .LBB6_1737
.LBB6_1738:
	s_trap 2
	s_sendmsg_rtn_b32 s0, sendmsg(MSG_RTN_GET_DOORBELL)
	s_mov_b32 ttmp2, m0
	s_waitcnt lgkmcnt(0)
	s_and_b32 s0, s0, 0x3ff
	s_delay_alu instid0(SALU_CYCLE_1) | instskip(NEXT) | instid1(SALU_CYCLE_1)
	s_bitset1_b32 s0, 10
	s_mov_b32 m0, s0
	s_sendmsg sendmsg(MSG_INTERRUPT)
	s_mov_b32 m0, ttmp2
.LBB6_1739:                             ; =>This Inner Loop Header: Depth=1
	s_sethalt 5
	s_branch .LBB6_1739
.LBB6_1740:
	s_trap 2
	s_sendmsg_rtn_b32 s0, sendmsg(MSG_RTN_GET_DOORBELL)
	s_mov_b32 ttmp2, m0
	s_waitcnt lgkmcnt(0)
	s_and_b32 s0, s0, 0x3ff
	s_delay_alu instid0(SALU_CYCLE_1) | instskip(NEXT) | instid1(SALU_CYCLE_1)
	s_bitset1_b32 s0, 10
	s_mov_b32 m0, s0
	s_sendmsg sendmsg(MSG_INTERRUPT)
	s_mov_b32 m0, ttmp2
.LBB6_1741:                             ; =>This Inner Loop Header: Depth=1
	s_sethalt 5
	s_branch .LBB6_1741
.LBB6_1742:
	s_trap 2
	s_sendmsg_rtn_b32 s0, sendmsg(MSG_RTN_GET_DOORBELL)
	s_mov_b32 ttmp2, m0
	s_waitcnt lgkmcnt(0)
	s_and_b32 s0, s0, 0x3ff
	s_delay_alu instid0(SALU_CYCLE_1) | instskip(NEXT) | instid1(SALU_CYCLE_1)
	s_bitset1_b32 s0, 10
	s_mov_b32 m0, s0
	s_sendmsg sendmsg(MSG_INTERRUPT)
	s_mov_b32 m0, ttmp2
.LBB6_1743:                             ; =>This Inner Loop Header: Depth=1
	s_sethalt 5
	s_branch .LBB6_1743
.LBB6_1744:
	s_trap 2
	s_sendmsg_rtn_b32 s0, sendmsg(MSG_RTN_GET_DOORBELL)
	s_mov_b32 ttmp2, m0
	s_waitcnt lgkmcnt(0)
	s_and_b32 s0, s0, 0x3ff
	s_delay_alu instid0(SALU_CYCLE_1) | instskip(NEXT) | instid1(SALU_CYCLE_1)
	s_bitset1_b32 s0, 10
	s_mov_b32 m0, s0
	s_sendmsg sendmsg(MSG_INTERRUPT)
	s_mov_b32 m0, ttmp2
.LBB6_1745:                             ; =>This Inner Loop Header: Depth=1
	s_sethalt 5
	s_branch .LBB6_1745
.LBB6_1746:
	s_trap 2
	s_sendmsg_rtn_b32 s0, sendmsg(MSG_RTN_GET_DOORBELL)
	s_mov_b32 ttmp2, m0
	s_waitcnt lgkmcnt(0)
	s_and_b32 s0, s0, 0x3ff
	s_delay_alu instid0(SALU_CYCLE_1) | instskip(NEXT) | instid1(SALU_CYCLE_1)
	s_bitset1_b32 s0, 10
	s_mov_b32 m0, s0
	s_sendmsg sendmsg(MSG_INTERRUPT)
	s_mov_b32 m0, ttmp2
.LBB6_1747:                             ; =>This Inner Loop Header: Depth=1
	s_sethalt 5
	s_branch .LBB6_1747
.LBB6_1748:
	s_trap 2
	s_sendmsg_rtn_b32 s0, sendmsg(MSG_RTN_GET_DOORBELL)
	s_mov_b32 ttmp2, m0
	s_waitcnt lgkmcnt(0)
	s_and_b32 s0, s0, 0x3ff
	s_delay_alu instid0(SALU_CYCLE_1) | instskip(NEXT) | instid1(SALU_CYCLE_1)
	s_bitset1_b32 s0, 10
	s_mov_b32 m0, s0
	s_sendmsg sendmsg(MSG_INTERRUPT)
	s_mov_b32 m0, ttmp2
.LBB6_1749:                             ; =>This Inner Loop Header: Depth=1
	s_sethalt 5
	s_branch .LBB6_1749
.LBB6_1750:
	s_trap 2
	s_sendmsg_rtn_b32 s0, sendmsg(MSG_RTN_GET_DOORBELL)
	s_mov_b32 ttmp2, m0
	s_waitcnt lgkmcnt(0)
	s_and_b32 s0, s0, 0x3ff
	s_delay_alu instid0(SALU_CYCLE_1) | instskip(NEXT) | instid1(SALU_CYCLE_1)
	s_bitset1_b32 s0, 10
	s_mov_b32 m0, s0
	s_sendmsg sendmsg(MSG_INTERRUPT)
	s_mov_b32 m0, ttmp2
.LBB6_1751:                             ; =>This Inner Loop Header: Depth=1
	s_sethalt 5
	s_branch .LBB6_1751
.LBB6_1752:
	s_trap 2
	s_sendmsg_rtn_b32 s0, sendmsg(MSG_RTN_GET_DOORBELL)
	s_mov_b32 ttmp2, m0
	s_waitcnt lgkmcnt(0)
	s_and_b32 s0, s0, 0x3ff
	s_delay_alu instid0(SALU_CYCLE_1) | instskip(NEXT) | instid1(SALU_CYCLE_1)
	s_bitset1_b32 s0, 10
	s_mov_b32 m0, s0
	s_sendmsg sendmsg(MSG_INTERRUPT)
	s_mov_b32 m0, ttmp2
.LBB6_1753:                             ; =>This Inner Loop Header: Depth=1
	s_sethalt 5
	s_branch .LBB6_1753
.LBB6_1754:
	s_trap 2
	s_sendmsg_rtn_b32 s0, sendmsg(MSG_RTN_GET_DOORBELL)
	s_mov_b32 ttmp2, m0
	s_waitcnt lgkmcnt(0)
	s_and_b32 s0, s0, 0x3ff
	s_delay_alu instid0(SALU_CYCLE_1) | instskip(NEXT) | instid1(SALU_CYCLE_1)
	s_bitset1_b32 s0, 10
	s_mov_b32 m0, s0
	s_sendmsg sendmsg(MSG_INTERRUPT)
	s_mov_b32 m0, ttmp2
.LBB6_1755:                             ; =>This Inner Loop Header: Depth=1
	s_sethalt 5
	s_branch .LBB6_1755
.LBB6_1756:
	s_trap 2
	s_sendmsg_rtn_b32 s0, sendmsg(MSG_RTN_GET_DOORBELL)
	s_mov_b32 ttmp2, m0
	s_waitcnt lgkmcnt(0)
	s_and_b32 s0, s0, 0x3ff
	s_delay_alu instid0(SALU_CYCLE_1) | instskip(NEXT) | instid1(SALU_CYCLE_1)
	s_bitset1_b32 s0, 10
	s_mov_b32 m0, s0
	s_sendmsg sendmsg(MSG_INTERRUPT)
	s_mov_b32 m0, ttmp2
.LBB6_1757:                             ; =>This Inner Loop Header: Depth=1
	s_sethalt 5
	s_branch .LBB6_1757
.LBB6_1758:
	s_trap 2
	s_sendmsg_rtn_b32 s0, sendmsg(MSG_RTN_GET_DOORBELL)
	s_mov_b32 ttmp2, m0
	s_waitcnt lgkmcnt(0)
	s_and_b32 s0, s0, 0x3ff
	s_delay_alu instid0(SALU_CYCLE_1) | instskip(NEXT) | instid1(SALU_CYCLE_1)
	s_bitset1_b32 s0, 10
	s_mov_b32 m0, s0
	s_sendmsg sendmsg(MSG_INTERRUPT)
	s_mov_b32 m0, ttmp2
.LBB6_1759:                             ; =>This Inner Loop Header: Depth=1
	s_sethalt 5
	s_branch .LBB6_1759
.LBB6_1760:
	s_trap 2
	s_sendmsg_rtn_b32 s0, sendmsg(MSG_RTN_GET_DOORBELL)
	s_mov_b32 ttmp2, m0
	s_waitcnt lgkmcnt(0)
	s_and_b32 s0, s0, 0x3ff
	s_delay_alu instid0(SALU_CYCLE_1) | instskip(NEXT) | instid1(SALU_CYCLE_1)
	s_bitset1_b32 s0, 10
	s_mov_b32 m0, s0
	s_sendmsg sendmsg(MSG_INTERRUPT)
	s_mov_b32 m0, ttmp2
.LBB6_1761:                             ; =>This Inner Loop Header: Depth=1
	s_sethalt 5
	s_branch .LBB6_1761
.LBB6_1762:
	s_trap 2
	s_sendmsg_rtn_b32 s0, sendmsg(MSG_RTN_GET_DOORBELL)
	s_mov_b32 ttmp2, m0
	s_waitcnt lgkmcnt(0)
	s_and_b32 s0, s0, 0x3ff
	s_delay_alu instid0(SALU_CYCLE_1) | instskip(NEXT) | instid1(SALU_CYCLE_1)
	s_bitset1_b32 s0, 10
	s_mov_b32 m0, s0
	s_sendmsg sendmsg(MSG_INTERRUPT)
	s_mov_b32 m0, ttmp2
.LBB6_1763:                             ; =>This Inner Loop Header: Depth=1
	s_sethalt 5
	s_branch .LBB6_1763
.LBB6_1764:
	s_trap 2
	s_sendmsg_rtn_b32 s0, sendmsg(MSG_RTN_GET_DOORBELL)
	s_mov_b32 ttmp2, m0
	s_waitcnt lgkmcnt(0)
	s_and_b32 s0, s0, 0x3ff
	s_delay_alu instid0(SALU_CYCLE_1) | instskip(NEXT) | instid1(SALU_CYCLE_1)
	s_bitset1_b32 s0, 10
	s_mov_b32 m0, s0
	s_sendmsg sendmsg(MSG_INTERRUPT)
	s_mov_b32 m0, ttmp2
.LBB6_1765:                             ; =>This Inner Loop Header: Depth=1
	s_sethalt 5
	s_branch .LBB6_1765
.LBB6_1766:
	s_trap 2
	s_sendmsg_rtn_b32 s0, sendmsg(MSG_RTN_GET_DOORBELL)
	s_mov_b32 ttmp2, m0
	s_waitcnt lgkmcnt(0)
	s_and_b32 s0, s0, 0x3ff
	s_delay_alu instid0(SALU_CYCLE_1) | instskip(NEXT) | instid1(SALU_CYCLE_1)
	s_bitset1_b32 s0, 10
	s_mov_b32 m0, s0
	s_sendmsg sendmsg(MSG_INTERRUPT)
	s_mov_b32 m0, ttmp2
.LBB6_1767:                             ; =>This Inner Loop Header: Depth=1
	s_sethalt 5
	s_branch .LBB6_1767
.LBB6_1768:
	s_trap 2
	s_sendmsg_rtn_b32 s0, sendmsg(MSG_RTN_GET_DOORBELL)
	s_mov_b32 ttmp2, m0
	s_waitcnt lgkmcnt(0)
	s_and_b32 s0, s0, 0x3ff
	s_delay_alu instid0(SALU_CYCLE_1) | instskip(NEXT) | instid1(SALU_CYCLE_1)
	s_bitset1_b32 s0, 10
	s_mov_b32 m0, s0
	s_sendmsg sendmsg(MSG_INTERRUPT)
	s_mov_b32 m0, ttmp2
.LBB6_1769:                             ; =>This Inner Loop Header: Depth=1
	s_sethalt 5
	s_branch .LBB6_1769
.LBB6_1770:
	s_trap 2
	s_sendmsg_rtn_b32 s0, sendmsg(MSG_RTN_GET_DOORBELL)
	s_mov_b32 ttmp2, m0
	s_waitcnt lgkmcnt(0)
	s_and_b32 s0, s0, 0x3ff
	s_delay_alu instid0(SALU_CYCLE_1) | instskip(NEXT) | instid1(SALU_CYCLE_1)
	s_bitset1_b32 s0, 10
	s_mov_b32 m0, s0
	s_sendmsg sendmsg(MSG_INTERRUPT)
	s_mov_b32 m0, ttmp2
.LBB6_1771:                             ; =>This Inner Loop Header: Depth=1
	s_sethalt 5
	s_branch .LBB6_1771
.LBB6_1772:
	s_trap 2
	s_sendmsg_rtn_b32 s0, sendmsg(MSG_RTN_GET_DOORBELL)
	s_mov_b32 ttmp2, m0
	s_waitcnt lgkmcnt(0)
	s_and_b32 s0, s0, 0x3ff
	s_delay_alu instid0(SALU_CYCLE_1) | instskip(NEXT) | instid1(SALU_CYCLE_1)
	s_bitset1_b32 s0, 10
	s_mov_b32 m0, s0
	s_sendmsg sendmsg(MSG_INTERRUPT)
	s_mov_b32 m0, ttmp2
.LBB6_1773:                             ; =>This Inner Loop Header: Depth=1
	s_sethalt 5
	s_branch .LBB6_1773
.LBB6_1774:
	s_trap 2
	s_sendmsg_rtn_b32 s0, sendmsg(MSG_RTN_GET_DOORBELL)
	s_mov_b32 ttmp2, m0
	s_waitcnt lgkmcnt(0)
	s_and_b32 s0, s0, 0x3ff
	s_delay_alu instid0(SALU_CYCLE_1) | instskip(NEXT) | instid1(SALU_CYCLE_1)
	s_bitset1_b32 s0, 10
	s_mov_b32 m0, s0
	s_sendmsg sendmsg(MSG_INTERRUPT)
	s_mov_b32 m0, ttmp2
.LBB6_1775:                             ; =>This Inner Loop Header: Depth=1
	s_sethalt 5
	s_branch .LBB6_1775
.LBB6_1776:
	s_trap 2
	s_sendmsg_rtn_b32 s0, sendmsg(MSG_RTN_GET_DOORBELL)
	s_mov_b32 ttmp2, m0
	s_waitcnt lgkmcnt(0)
	s_and_b32 s0, s0, 0x3ff
	s_delay_alu instid0(SALU_CYCLE_1) | instskip(NEXT) | instid1(SALU_CYCLE_1)
	s_bitset1_b32 s0, 10
	s_mov_b32 m0, s0
	s_sendmsg sendmsg(MSG_INTERRUPT)
	s_mov_b32 m0, ttmp2
.LBB6_1777:                             ; =>This Inner Loop Header: Depth=1
	s_sethalt 5
	s_branch .LBB6_1777
.LBB6_1778:
	s_trap 2
	s_sendmsg_rtn_b32 s0, sendmsg(MSG_RTN_GET_DOORBELL)
	s_mov_b32 ttmp2, m0
	s_waitcnt lgkmcnt(0)
	s_and_b32 s0, s0, 0x3ff
	s_delay_alu instid0(SALU_CYCLE_1) | instskip(NEXT) | instid1(SALU_CYCLE_1)
	s_bitset1_b32 s0, 10
	s_mov_b32 m0, s0
	s_sendmsg sendmsg(MSG_INTERRUPT)
	s_mov_b32 m0, ttmp2
.LBB6_1779:                             ; =>This Inner Loop Header: Depth=1
	s_sethalt 5
	s_branch .LBB6_1779
.LBB6_1780:
	s_trap 2
	s_sendmsg_rtn_b32 s0, sendmsg(MSG_RTN_GET_DOORBELL)
	s_mov_b32 ttmp2, m0
	s_waitcnt lgkmcnt(0)
	s_and_b32 s0, s0, 0x3ff
	s_delay_alu instid0(SALU_CYCLE_1) | instskip(NEXT) | instid1(SALU_CYCLE_1)
	s_bitset1_b32 s0, 10
	s_mov_b32 m0, s0
	s_sendmsg sendmsg(MSG_INTERRUPT)
	s_mov_b32 m0, ttmp2
.LBB6_1781:                             ; =>This Inner Loop Header: Depth=1
	s_sethalt 5
	s_branch .LBB6_1781
.LBB6_1782:
	s_trap 2
	s_sendmsg_rtn_b32 s0, sendmsg(MSG_RTN_GET_DOORBELL)
	s_mov_b32 ttmp2, m0
	s_waitcnt lgkmcnt(0)
	s_and_b32 s0, s0, 0x3ff
	s_delay_alu instid0(SALU_CYCLE_1) | instskip(NEXT) | instid1(SALU_CYCLE_1)
	s_bitset1_b32 s0, 10
	s_mov_b32 m0, s0
	s_sendmsg sendmsg(MSG_INTERRUPT)
	s_mov_b32 m0, ttmp2
.LBB6_1783:                             ; =>This Inner Loop Header: Depth=1
	s_sethalt 5
	s_branch .LBB6_1783
.LBB6_1784:
	s_trap 2
	s_sendmsg_rtn_b32 s0, sendmsg(MSG_RTN_GET_DOORBELL)
	s_mov_b32 ttmp2, m0
	s_waitcnt lgkmcnt(0)
	s_and_b32 s0, s0, 0x3ff
	s_delay_alu instid0(SALU_CYCLE_1) | instskip(NEXT) | instid1(SALU_CYCLE_1)
	s_bitset1_b32 s0, 10
	s_mov_b32 m0, s0
	s_sendmsg sendmsg(MSG_INTERRUPT)
	s_mov_b32 m0, ttmp2
.LBB6_1785:                             ; =>This Inner Loop Header: Depth=1
	s_sethalt 5
	s_branch .LBB6_1785
.LBB6_1786:
	s_trap 2
	s_sendmsg_rtn_b32 s0, sendmsg(MSG_RTN_GET_DOORBELL)
	s_mov_b32 ttmp2, m0
	s_waitcnt lgkmcnt(0)
	s_and_b32 s0, s0, 0x3ff
	s_delay_alu instid0(SALU_CYCLE_1) | instskip(NEXT) | instid1(SALU_CYCLE_1)
	s_bitset1_b32 s0, 10
	s_mov_b32 m0, s0
	s_sendmsg sendmsg(MSG_INTERRUPT)
	s_mov_b32 m0, ttmp2
.LBB6_1787:                             ; =>This Inner Loop Header: Depth=1
	s_sethalt 5
	s_branch .LBB6_1787
.LBB6_1788:
	s_trap 2
	s_sendmsg_rtn_b32 s0, sendmsg(MSG_RTN_GET_DOORBELL)
	s_mov_b32 ttmp2, m0
	s_waitcnt lgkmcnt(0)
	s_and_b32 s0, s0, 0x3ff
	s_delay_alu instid0(SALU_CYCLE_1) | instskip(NEXT) | instid1(SALU_CYCLE_1)
	s_bitset1_b32 s0, 10
	s_mov_b32 m0, s0
	s_sendmsg sendmsg(MSG_INTERRUPT)
	s_mov_b32 m0, ttmp2
.LBB6_1789:                             ; =>This Inner Loop Header: Depth=1
	s_sethalt 5
	s_branch .LBB6_1789
.LBB6_1790:
	s_trap 2
	s_sendmsg_rtn_b32 s0, sendmsg(MSG_RTN_GET_DOORBELL)
	s_mov_b32 ttmp2, m0
	s_waitcnt lgkmcnt(0)
	s_and_b32 s0, s0, 0x3ff
	s_delay_alu instid0(SALU_CYCLE_1) | instskip(NEXT) | instid1(SALU_CYCLE_1)
	s_bitset1_b32 s0, 10
	s_mov_b32 m0, s0
	s_sendmsg sendmsg(MSG_INTERRUPT)
	s_mov_b32 m0, ttmp2
.LBB6_1791:                             ; =>This Inner Loop Header: Depth=1
	s_sethalt 5
	s_branch .LBB6_1791
.LBB6_1792:
	s_trap 2
	s_sendmsg_rtn_b32 s0, sendmsg(MSG_RTN_GET_DOORBELL)
	s_mov_b32 ttmp2, m0
	s_waitcnt lgkmcnt(0)
	s_and_b32 s0, s0, 0x3ff
	s_delay_alu instid0(SALU_CYCLE_1) | instskip(NEXT) | instid1(SALU_CYCLE_1)
	s_bitset1_b32 s0, 10
	s_mov_b32 m0, s0
	s_sendmsg sendmsg(MSG_INTERRUPT)
	s_mov_b32 m0, ttmp2
.LBB6_1793:                             ; =>This Inner Loop Header: Depth=1
	s_sethalt 5
	s_branch .LBB6_1793
.LBB6_1794:
	s_trap 2
	s_sendmsg_rtn_b32 s0, sendmsg(MSG_RTN_GET_DOORBELL)
	s_mov_b32 ttmp2, m0
	s_waitcnt lgkmcnt(0)
	s_and_b32 s0, s0, 0x3ff
	s_delay_alu instid0(SALU_CYCLE_1) | instskip(NEXT) | instid1(SALU_CYCLE_1)
	s_bitset1_b32 s0, 10
	s_mov_b32 m0, s0
	s_sendmsg sendmsg(MSG_INTERRUPT)
	s_mov_b32 m0, ttmp2
.LBB6_1795:                             ; =>This Inner Loop Header: Depth=1
	s_sethalt 5
	s_branch .LBB6_1795
.LBB6_1796:
	s_trap 2
	s_sendmsg_rtn_b32 s0, sendmsg(MSG_RTN_GET_DOORBELL)
	s_mov_b32 ttmp2, m0
	s_waitcnt lgkmcnt(0)
	s_and_b32 s0, s0, 0x3ff
	s_delay_alu instid0(SALU_CYCLE_1) | instskip(NEXT) | instid1(SALU_CYCLE_1)
	s_bitset1_b32 s0, 10
	s_mov_b32 m0, s0
	s_sendmsg sendmsg(MSG_INTERRUPT)
	s_mov_b32 m0, ttmp2
.LBB6_1797:                             ; =>This Inner Loop Header: Depth=1
	s_sethalt 5
	s_branch .LBB6_1797
.LBB6_1798:
	s_trap 2
	s_sendmsg_rtn_b32 s0, sendmsg(MSG_RTN_GET_DOORBELL)
	s_mov_b32 ttmp2, m0
	s_waitcnt lgkmcnt(0)
	s_and_b32 s0, s0, 0x3ff
	s_delay_alu instid0(SALU_CYCLE_1) | instskip(NEXT) | instid1(SALU_CYCLE_1)
	s_bitset1_b32 s0, 10
	s_mov_b32 m0, s0
	s_sendmsg sendmsg(MSG_INTERRUPT)
	s_mov_b32 m0, ttmp2
.LBB6_1799:                             ; =>This Inner Loop Header: Depth=1
	s_sethalt 5
	s_branch .LBB6_1799
.LBB6_1800:
	s_trap 2
	s_sendmsg_rtn_b32 s0, sendmsg(MSG_RTN_GET_DOORBELL)
	s_mov_b32 ttmp2, m0
	s_waitcnt lgkmcnt(0)
	s_and_b32 s0, s0, 0x3ff
	s_delay_alu instid0(SALU_CYCLE_1) | instskip(NEXT) | instid1(SALU_CYCLE_1)
	s_bitset1_b32 s0, 10
	s_mov_b32 m0, s0
	s_sendmsg sendmsg(MSG_INTERRUPT)
	s_mov_b32 m0, ttmp2
.LBB6_1801:                             ; =>This Inner Loop Header: Depth=1
	s_sethalt 5
	s_branch .LBB6_1801
.LBB6_1802:
	s_trap 2
	s_sendmsg_rtn_b32 s0, sendmsg(MSG_RTN_GET_DOORBELL)
	s_mov_b32 ttmp2, m0
	s_waitcnt lgkmcnt(0)
	s_and_b32 s0, s0, 0x3ff
	s_delay_alu instid0(SALU_CYCLE_1) | instskip(NEXT) | instid1(SALU_CYCLE_1)
	s_bitset1_b32 s0, 10
	s_mov_b32 m0, s0
	s_sendmsg sendmsg(MSG_INTERRUPT)
	s_mov_b32 m0, ttmp2
.LBB6_1803:                             ; =>This Inner Loop Header: Depth=1
	s_sethalt 5
	s_branch .LBB6_1803
.LBB6_1804:
	s_trap 2
	s_sendmsg_rtn_b32 s0, sendmsg(MSG_RTN_GET_DOORBELL)
	s_mov_b32 ttmp2, m0
	s_waitcnt lgkmcnt(0)
	s_and_b32 s0, s0, 0x3ff
	s_delay_alu instid0(SALU_CYCLE_1) | instskip(NEXT) | instid1(SALU_CYCLE_1)
	s_bitset1_b32 s0, 10
	s_mov_b32 m0, s0
	s_sendmsg sendmsg(MSG_INTERRUPT)
	s_mov_b32 m0, ttmp2
.LBB6_1805:                             ; =>This Inner Loop Header: Depth=1
	s_sethalt 5
	s_branch .LBB6_1805
.LBB6_1806:
	s_trap 2
	s_sendmsg_rtn_b32 s0, sendmsg(MSG_RTN_GET_DOORBELL)
	s_mov_b32 ttmp2, m0
	s_waitcnt lgkmcnt(0)
	s_and_b32 s0, s0, 0x3ff
	s_delay_alu instid0(SALU_CYCLE_1) | instskip(NEXT) | instid1(SALU_CYCLE_1)
	s_bitset1_b32 s0, 10
	s_mov_b32 m0, s0
	s_sendmsg sendmsg(MSG_INTERRUPT)
	s_mov_b32 m0, ttmp2
.LBB6_1807:                             ; =>This Inner Loop Header: Depth=1
	s_sethalt 5
	s_branch .LBB6_1807
.LBB6_1808:
	s_trap 2
	s_sendmsg_rtn_b32 s0, sendmsg(MSG_RTN_GET_DOORBELL)
	s_mov_b32 ttmp2, m0
	s_waitcnt lgkmcnt(0)
	s_and_b32 s0, s0, 0x3ff
	s_delay_alu instid0(SALU_CYCLE_1) | instskip(NEXT) | instid1(SALU_CYCLE_1)
	s_bitset1_b32 s0, 10
	s_mov_b32 m0, s0
	s_sendmsg sendmsg(MSG_INTERRUPT)
	s_mov_b32 m0, ttmp2
.LBB6_1809:                             ; =>This Inner Loop Header: Depth=1
	s_sethalt 5
	s_branch .LBB6_1809
.LBB6_1810:
	s_trap 2
	s_sendmsg_rtn_b32 s0, sendmsg(MSG_RTN_GET_DOORBELL)
	s_mov_b32 ttmp2, m0
	s_waitcnt lgkmcnt(0)
	s_and_b32 s0, s0, 0x3ff
	s_delay_alu instid0(SALU_CYCLE_1) | instskip(NEXT) | instid1(SALU_CYCLE_1)
	s_bitset1_b32 s0, 10
	s_mov_b32 m0, s0
	s_sendmsg sendmsg(MSG_INTERRUPT)
	s_mov_b32 m0, ttmp2
.LBB6_1811:                             ; =>This Inner Loop Header: Depth=1
	s_sethalt 5
	s_branch .LBB6_1811
.LBB6_1812:
	s_trap 2
	s_sendmsg_rtn_b32 s0, sendmsg(MSG_RTN_GET_DOORBELL)
	s_mov_b32 ttmp2, m0
	s_waitcnt lgkmcnt(0)
	s_and_b32 s0, s0, 0x3ff
	s_delay_alu instid0(SALU_CYCLE_1) | instskip(NEXT) | instid1(SALU_CYCLE_1)
	s_bitset1_b32 s0, 10
	s_mov_b32 m0, s0
	s_sendmsg sendmsg(MSG_INTERRUPT)
	s_mov_b32 m0, ttmp2
.LBB6_1813:                             ; =>This Inner Loop Header: Depth=1
	s_sethalt 5
	s_branch .LBB6_1813
.LBB6_1814:
	s_trap 2
	s_sendmsg_rtn_b32 s0, sendmsg(MSG_RTN_GET_DOORBELL)
	s_mov_b32 ttmp2, m0
	s_waitcnt lgkmcnt(0)
	s_and_b32 s0, s0, 0x3ff
	s_delay_alu instid0(SALU_CYCLE_1) | instskip(NEXT) | instid1(SALU_CYCLE_1)
	s_bitset1_b32 s0, 10
	s_mov_b32 m0, s0
	s_sendmsg sendmsg(MSG_INTERRUPT)
	s_mov_b32 m0, ttmp2
.LBB6_1815:                             ; =>This Inner Loop Header: Depth=1
	s_sethalt 5
	s_branch .LBB6_1815
.LBB6_1816:
	s_trap 2
	s_sendmsg_rtn_b32 s0, sendmsg(MSG_RTN_GET_DOORBELL)
	s_mov_b32 ttmp2, m0
	s_waitcnt lgkmcnt(0)
	s_and_b32 s0, s0, 0x3ff
	s_delay_alu instid0(SALU_CYCLE_1) | instskip(NEXT) | instid1(SALU_CYCLE_1)
	s_bitset1_b32 s0, 10
	s_mov_b32 m0, s0
	s_sendmsg sendmsg(MSG_INTERRUPT)
	s_mov_b32 m0, ttmp2
.LBB6_1817:                             ; =>This Inner Loop Header: Depth=1
	s_sethalt 5
	s_branch .LBB6_1817
.LBB6_1818:
	s_trap 2
	s_sendmsg_rtn_b32 s0, sendmsg(MSG_RTN_GET_DOORBELL)
	s_mov_b32 ttmp2, m0
	s_waitcnt lgkmcnt(0)
	s_and_b32 s0, s0, 0x3ff
	s_delay_alu instid0(SALU_CYCLE_1) | instskip(NEXT) | instid1(SALU_CYCLE_1)
	s_bitset1_b32 s0, 10
	s_mov_b32 m0, s0
	s_sendmsg sendmsg(MSG_INTERRUPT)
	s_mov_b32 m0, ttmp2
.LBB6_1819:                             ; =>This Inner Loop Header: Depth=1
	s_sethalt 5
	s_branch .LBB6_1819
.LBB6_1820:
	s_trap 2
	s_sendmsg_rtn_b32 s0, sendmsg(MSG_RTN_GET_DOORBELL)
	s_mov_b32 ttmp2, m0
	s_waitcnt lgkmcnt(0)
	s_and_b32 s0, s0, 0x3ff
	s_delay_alu instid0(SALU_CYCLE_1) | instskip(NEXT) | instid1(SALU_CYCLE_1)
	s_bitset1_b32 s0, 10
	s_mov_b32 m0, s0
	s_sendmsg sendmsg(MSG_INTERRUPT)
	s_mov_b32 m0, ttmp2
.LBB6_1821:                             ; =>This Inner Loop Header: Depth=1
	s_sethalt 5
	s_branch .LBB6_1821
.LBB6_1822:
	s_trap 2
	s_sendmsg_rtn_b32 s0, sendmsg(MSG_RTN_GET_DOORBELL)
	s_mov_b32 ttmp2, m0
	s_waitcnt lgkmcnt(0)
	s_and_b32 s0, s0, 0x3ff
	s_delay_alu instid0(SALU_CYCLE_1) | instskip(NEXT) | instid1(SALU_CYCLE_1)
	s_bitset1_b32 s0, 10
	s_mov_b32 m0, s0
	s_sendmsg sendmsg(MSG_INTERRUPT)
	s_mov_b32 m0, ttmp2
.LBB6_1823:                             ; =>This Inner Loop Header: Depth=1
	s_sethalt 5
	s_branch .LBB6_1823
.LBB6_1824:
	s_trap 2
	s_sendmsg_rtn_b32 s0, sendmsg(MSG_RTN_GET_DOORBELL)
	s_mov_b32 ttmp2, m0
	s_waitcnt lgkmcnt(0)
	s_and_b32 s0, s0, 0x3ff
	s_delay_alu instid0(SALU_CYCLE_1) | instskip(NEXT) | instid1(SALU_CYCLE_1)
	s_bitset1_b32 s0, 10
	s_mov_b32 m0, s0
	s_sendmsg sendmsg(MSG_INTERRUPT)
	s_mov_b32 m0, ttmp2
.LBB6_1825:                             ; =>This Inner Loop Header: Depth=1
	s_sethalt 5
	s_branch .LBB6_1825
.LBB6_1826:
	s_trap 2
	s_sendmsg_rtn_b32 s0, sendmsg(MSG_RTN_GET_DOORBELL)
	s_mov_b32 ttmp2, m0
	s_waitcnt lgkmcnt(0)
	s_and_b32 s0, s0, 0x3ff
	s_delay_alu instid0(SALU_CYCLE_1) | instskip(NEXT) | instid1(SALU_CYCLE_1)
	s_bitset1_b32 s0, 10
	s_mov_b32 m0, s0
	s_sendmsg sendmsg(MSG_INTERRUPT)
	s_mov_b32 m0, ttmp2
.LBB6_1827:                             ; =>This Inner Loop Header: Depth=1
	s_sethalt 5
	s_branch .LBB6_1827
.LBB6_1828:
	s_trap 2
	s_sendmsg_rtn_b32 s0, sendmsg(MSG_RTN_GET_DOORBELL)
	s_mov_b32 ttmp2, m0
	s_waitcnt lgkmcnt(0)
	s_and_b32 s0, s0, 0x3ff
	s_delay_alu instid0(SALU_CYCLE_1) | instskip(NEXT) | instid1(SALU_CYCLE_1)
	s_bitset1_b32 s0, 10
	s_mov_b32 m0, s0
	s_sendmsg sendmsg(MSG_INTERRUPT)
	s_mov_b32 m0, ttmp2
.LBB6_1829:                             ; =>This Inner Loop Header: Depth=1
	s_sethalt 5
	s_branch .LBB6_1829
.LBB6_1830:
	s_trap 2
	s_sendmsg_rtn_b32 s0, sendmsg(MSG_RTN_GET_DOORBELL)
	s_mov_b32 ttmp2, m0
	s_waitcnt lgkmcnt(0)
	s_and_b32 s0, s0, 0x3ff
	s_delay_alu instid0(SALU_CYCLE_1) | instskip(NEXT) | instid1(SALU_CYCLE_1)
	s_bitset1_b32 s0, 10
	s_mov_b32 m0, s0
	s_sendmsg sendmsg(MSG_INTERRUPT)
	s_mov_b32 m0, ttmp2
.LBB6_1831:                             ; =>This Inner Loop Header: Depth=1
	s_sethalt 5
	s_branch .LBB6_1831
.LBB6_1832:
	s_trap 2
	s_sendmsg_rtn_b32 s0, sendmsg(MSG_RTN_GET_DOORBELL)
	s_mov_b32 ttmp2, m0
	s_waitcnt lgkmcnt(0)
	s_and_b32 s0, s0, 0x3ff
	s_delay_alu instid0(SALU_CYCLE_1) | instskip(NEXT) | instid1(SALU_CYCLE_1)
	s_bitset1_b32 s0, 10
	s_mov_b32 m0, s0
	s_sendmsg sendmsg(MSG_INTERRUPT)
	s_mov_b32 m0, ttmp2
.LBB6_1833:                             ; =>This Inner Loop Header: Depth=1
	s_sethalt 5
	s_branch .LBB6_1833
.LBB6_1834:
	s_trap 2
	s_sendmsg_rtn_b32 s0, sendmsg(MSG_RTN_GET_DOORBELL)
	s_mov_b32 ttmp2, m0
	s_waitcnt lgkmcnt(0)
	s_and_b32 s0, s0, 0x3ff
	s_delay_alu instid0(SALU_CYCLE_1) | instskip(NEXT) | instid1(SALU_CYCLE_1)
	s_bitset1_b32 s0, 10
	s_mov_b32 m0, s0
	s_sendmsg sendmsg(MSG_INTERRUPT)
	s_mov_b32 m0, ttmp2
.LBB6_1835:                             ; =>This Inner Loop Header: Depth=1
	s_sethalt 5
	s_branch .LBB6_1835
.LBB6_1836:
	s_trap 2
	s_sendmsg_rtn_b32 s0, sendmsg(MSG_RTN_GET_DOORBELL)
	s_mov_b32 ttmp2, m0
	s_waitcnt lgkmcnt(0)
	s_and_b32 s0, s0, 0x3ff
	s_delay_alu instid0(SALU_CYCLE_1) | instskip(NEXT) | instid1(SALU_CYCLE_1)
	s_bitset1_b32 s0, 10
	s_mov_b32 m0, s0
	s_sendmsg sendmsg(MSG_INTERRUPT)
	s_mov_b32 m0, ttmp2
.LBB6_1837:                             ; =>This Inner Loop Header: Depth=1
	s_sethalt 5
	s_branch .LBB6_1837
.LBB6_1838:
	s_trap 2
	s_sendmsg_rtn_b32 s0, sendmsg(MSG_RTN_GET_DOORBELL)
	s_mov_b32 ttmp2, m0
	s_waitcnt lgkmcnt(0)
	s_and_b32 s0, s0, 0x3ff
	s_delay_alu instid0(SALU_CYCLE_1) | instskip(NEXT) | instid1(SALU_CYCLE_1)
	s_bitset1_b32 s0, 10
	s_mov_b32 m0, s0
	s_sendmsg sendmsg(MSG_INTERRUPT)
	s_mov_b32 m0, ttmp2
.LBB6_1839:                             ; =>This Inner Loop Header: Depth=1
	s_sethalt 5
	s_branch .LBB6_1839
.LBB6_1840:
	s_trap 2
	s_sendmsg_rtn_b32 s0, sendmsg(MSG_RTN_GET_DOORBELL)
	s_mov_b32 ttmp2, m0
	s_waitcnt lgkmcnt(0)
	s_and_b32 s0, s0, 0x3ff
	s_delay_alu instid0(SALU_CYCLE_1) | instskip(NEXT) | instid1(SALU_CYCLE_1)
	s_bitset1_b32 s0, 10
	s_mov_b32 m0, s0
	s_sendmsg sendmsg(MSG_INTERRUPT)
	s_mov_b32 m0, ttmp2
.LBB6_1841:                             ; =>This Inner Loop Header: Depth=1
	s_sethalt 5
	s_branch .LBB6_1841
.LBB6_1842:
	s_trap 2
	s_sendmsg_rtn_b32 s0, sendmsg(MSG_RTN_GET_DOORBELL)
	s_mov_b32 ttmp2, m0
	s_waitcnt lgkmcnt(0)
	s_and_b32 s0, s0, 0x3ff
	s_delay_alu instid0(SALU_CYCLE_1) | instskip(NEXT) | instid1(SALU_CYCLE_1)
	s_bitset1_b32 s0, 10
	s_mov_b32 m0, s0
	s_sendmsg sendmsg(MSG_INTERRUPT)
	s_mov_b32 m0, ttmp2
.LBB6_1843:                             ; =>This Inner Loop Header: Depth=1
	s_sethalt 5
	s_branch .LBB6_1843
.LBB6_1844:
	s_trap 2
	s_sendmsg_rtn_b32 s0, sendmsg(MSG_RTN_GET_DOORBELL)
	s_mov_b32 ttmp2, m0
	s_waitcnt lgkmcnt(0)
	s_and_b32 s0, s0, 0x3ff
	s_delay_alu instid0(SALU_CYCLE_1) | instskip(NEXT) | instid1(SALU_CYCLE_1)
	s_bitset1_b32 s0, 10
	s_mov_b32 m0, s0
	s_sendmsg sendmsg(MSG_INTERRUPT)
	s_mov_b32 m0, ttmp2
.LBB6_1845:                             ; =>This Inner Loop Header: Depth=1
	s_sethalt 5
	s_branch .LBB6_1845
.LBB6_1846:
	s_trap 2
	s_sendmsg_rtn_b32 s0, sendmsg(MSG_RTN_GET_DOORBELL)
	s_mov_b32 ttmp2, m0
	s_waitcnt lgkmcnt(0)
	s_and_b32 s0, s0, 0x3ff
	s_delay_alu instid0(SALU_CYCLE_1) | instskip(NEXT) | instid1(SALU_CYCLE_1)
	s_bitset1_b32 s0, 10
	s_mov_b32 m0, s0
	s_sendmsg sendmsg(MSG_INTERRUPT)
	s_mov_b32 m0, ttmp2
.LBB6_1847:                             ; =>This Inner Loop Header: Depth=1
	s_sethalt 5
	s_branch .LBB6_1847
.LBB6_1848:
	s_trap 2
	s_sendmsg_rtn_b32 s0, sendmsg(MSG_RTN_GET_DOORBELL)
	s_mov_b32 ttmp2, m0
	s_waitcnt lgkmcnt(0)
	s_and_b32 s0, s0, 0x3ff
	s_delay_alu instid0(SALU_CYCLE_1) | instskip(NEXT) | instid1(SALU_CYCLE_1)
	s_bitset1_b32 s0, 10
	s_mov_b32 m0, s0
	s_sendmsg sendmsg(MSG_INTERRUPT)
	s_mov_b32 m0, ttmp2
.LBB6_1849:                             ; =>This Inner Loop Header: Depth=1
	s_sethalt 5
	s_branch .LBB6_1849
.LBB6_1850:
	s_trap 2
	s_sendmsg_rtn_b32 s0, sendmsg(MSG_RTN_GET_DOORBELL)
	s_mov_b32 ttmp2, m0
	s_waitcnt lgkmcnt(0)
	s_and_b32 s0, s0, 0x3ff
	s_delay_alu instid0(SALU_CYCLE_1) | instskip(NEXT) | instid1(SALU_CYCLE_1)
	s_bitset1_b32 s0, 10
	s_mov_b32 m0, s0
	s_sendmsg sendmsg(MSG_INTERRUPT)
	s_mov_b32 m0, ttmp2
.LBB6_1851:                             ; =>This Inner Loop Header: Depth=1
	s_sethalt 5
	s_branch .LBB6_1851
.LBB6_1852:
	s_trap 2
	s_sendmsg_rtn_b32 s0, sendmsg(MSG_RTN_GET_DOORBELL)
	s_mov_b32 ttmp2, m0
	s_waitcnt lgkmcnt(0)
	s_and_b32 s0, s0, 0x3ff
	s_delay_alu instid0(SALU_CYCLE_1) | instskip(NEXT) | instid1(SALU_CYCLE_1)
	s_bitset1_b32 s0, 10
	s_mov_b32 m0, s0
	s_sendmsg sendmsg(MSG_INTERRUPT)
	s_mov_b32 m0, ttmp2
.LBB6_1853:                             ; =>This Inner Loop Header: Depth=1
	s_sethalt 5
	s_branch .LBB6_1853
.LBB6_1854:
	s_trap 2
	s_sendmsg_rtn_b32 s0, sendmsg(MSG_RTN_GET_DOORBELL)
	s_mov_b32 ttmp2, m0
	s_waitcnt lgkmcnt(0)
	s_and_b32 s0, s0, 0x3ff
	s_delay_alu instid0(SALU_CYCLE_1) | instskip(NEXT) | instid1(SALU_CYCLE_1)
	s_bitset1_b32 s0, 10
	s_mov_b32 m0, s0
	s_sendmsg sendmsg(MSG_INTERRUPT)
	s_mov_b32 m0, ttmp2
.LBB6_1855:                             ; =>This Inner Loop Header: Depth=1
	s_sethalt 5
	s_branch .LBB6_1855
.LBB6_1856:
	s_trap 2
	s_sendmsg_rtn_b32 s0, sendmsg(MSG_RTN_GET_DOORBELL)
	s_mov_b32 ttmp2, m0
	s_waitcnt lgkmcnt(0)
	s_and_b32 s0, s0, 0x3ff
	s_delay_alu instid0(SALU_CYCLE_1) | instskip(NEXT) | instid1(SALU_CYCLE_1)
	s_bitset1_b32 s0, 10
	s_mov_b32 m0, s0
	s_sendmsg sendmsg(MSG_INTERRUPT)
	s_mov_b32 m0, ttmp2
.LBB6_1857:                             ; =>This Inner Loop Header: Depth=1
	s_sethalt 5
	s_branch .LBB6_1857
.LBB6_1858:
	s_trap 2
	s_sendmsg_rtn_b32 s0, sendmsg(MSG_RTN_GET_DOORBELL)
	s_mov_b32 ttmp2, m0
	s_waitcnt lgkmcnt(0)
	s_and_b32 s0, s0, 0x3ff
	s_delay_alu instid0(SALU_CYCLE_1) | instskip(NEXT) | instid1(SALU_CYCLE_1)
	s_bitset1_b32 s0, 10
	s_mov_b32 m0, s0
	s_sendmsg sendmsg(MSG_INTERRUPT)
	s_mov_b32 m0, ttmp2
.LBB6_1859:                             ; =>This Inner Loop Header: Depth=1
	s_sethalt 5
	s_branch .LBB6_1859
.LBB6_1860:
	s_trap 2
	s_sendmsg_rtn_b32 s0, sendmsg(MSG_RTN_GET_DOORBELL)
	s_mov_b32 ttmp2, m0
	s_waitcnt lgkmcnt(0)
	s_and_b32 s0, s0, 0x3ff
	s_delay_alu instid0(SALU_CYCLE_1) | instskip(NEXT) | instid1(SALU_CYCLE_1)
	s_bitset1_b32 s0, 10
	s_mov_b32 m0, s0
	s_sendmsg sendmsg(MSG_INTERRUPT)
	s_mov_b32 m0, ttmp2
.LBB6_1861:                             ; =>This Inner Loop Header: Depth=1
	s_sethalt 5
	s_branch .LBB6_1861
.LBB6_1862:
	s_trap 2
	s_sendmsg_rtn_b32 s0, sendmsg(MSG_RTN_GET_DOORBELL)
	s_mov_b32 ttmp2, m0
	s_waitcnt lgkmcnt(0)
	s_and_b32 s0, s0, 0x3ff
	s_delay_alu instid0(SALU_CYCLE_1) | instskip(NEXT) | instid1(SALU_CYCLE_1)
	s_bitset1_b32 s0, 10
	s_mov_b32 m0, s0
	s_sendmsg sendmsg(MSG_INTERRUPT)
	s_mov_b32 m0, ttmp2
.LBB6_1863:                             ; =>This Inner Loop Header: Depth=1
	s_sethalt 5
	s_branch .LBB6_1863
.LBB6_1864:
	s_trap 2
	s_sendmsg_rtn_b32 s0, sendmsg(MSG_RTN_GET_DOORBELL)
	s_mov_b32 ttmp2, m0
	s_waitcnt lgkmcnt(0)
	s_and_b32 s0, s0, 0x3ff
	s_delay_alu instid0(SALU_CYCLE_1) | instskip(NEXT) | instid1(SALU_CYCLE_1)
	s_bitset1_b32 s0, 10
	s_mov_b32 m0, s0
	s_sendmsg sendmsg(MSG_INTERRUPT)
	s_mov_b32 m0, ttmp2
.LBB6_1865:                             ; =>This Inner Loop Header: Depth=1
	s_sethalt 5
	s_branch .LBB6_1865
.LBB6_1866:
	s_trap 2
	s_sendmsg_rtn_b32 s0, sendmsg(MSG_RTN_GET_DOORBELL)
	s_mov_b32 ttmp2, m0
	s_waitcnt lgkmcnt(0)
	s_and_b32 s0, s0, 0x3ff
	s_delay_alu instid0(SALU_CYCLE_1) | instskip(NEXT) | instid1(SALU_CYCLE_1)
	s_bitset1_b32 s0, 10
	s_mov_b32 m0, s0
	s_sendmsg sendmsg(MSG_INTERRUPT)
	s_mov_b32 m0, ttmp2
.LBB6_1867:                             ; =>This Inner Loop Header: Depth=1
	s_sethalt 5
	s_branch .LBB6_1867
.LBB6_1868:
	s_trap 2
	s_sendmsg_rtn_b32 s0, sendmsg(MSG_RTN_GET_DOORBELL)
	s_mov_b32 ttmp2, m0
	s_waitcnt lgkmcnt(0)
	s_and_b32 s0, s0, 0x3ff
	s_delay_alu instid0(SALU_CYCLE_1) | instskip(NEXT) | instid1(SALU_CYCLE_1)
	s_bitset1_b32 s0, 10
	s_mov_b32 m0, s0
	s_sendmsg sendmsg(MSG_INTERRUPT)
	s_mov_b32 m0, ttmp2
.LBB6_1869:                             ; =>This Inner Loop Header: Depth=1
	s_sethalt 5
	s_branch .LBB6_1869
.LBB6_1870:
	s_trap 2
	s_sendmsg_rtn_b32 s0, sendmsg(MSG_RTN_GET_DOORBELL)
	s_mov_b32 ttmp2, m0
	s_waitcnt lgkmcnt(0)
	s_and_b32 s0, s0, 0x3ff
	s_delay_alu instid0(SALU_CYCLE_1) | instskip(NEXT) | instid1(SALU_CYCLE_1)
	s_bitset1_b32 s0, 10
	s_mov_b32 m0, s0
	s_sendmsg sendmsg(MSG_INTERRUPT)
	s_mov_b32 m0, ttmp2
.LBB6_1871:                             ; =>This Inner Loop Header: Depth=1
	s_sethalt 5
	s_branch .LBB6_1871
.LBB6_1872:
	s_trap 2
	s_sendmsg_rtn_b32 s0, sendmsg(MSG_RTN_GET_DOORBELL)
	s_mov_b32 ttmp2, m0
	s_waitcnt lgkmcnt(0)
	s_and_b32 s0, s0, 0x3ff
	s_delay_alu instid0(SALU_CYCLE_1) | instskip(NEXT) | instid1(SALU_CYCLE_1)
	s_bitset1_b32 s0, 10
	s_mov_b32 m0, s0
	s_sendmsg sendmsg(MSG_INTERRUPT)
	s_mov_b32 m0, ttmp2
.LBB6_1873:                             ; =>This Inner Loop Header: Depth=1
	s_sethalt 5
	s_branch .LBB6_1873
.LBB6_1874:
	s_trap 2
	s_sendmsg_rtn_b32 s0, sendmsg(MSG_RTN_GET_DOORBELL)
	s_mov_b32 ttmp2, m0
	s_waitcnt lgkmcnt(0)
	s_and_b32 s0, s0, 0x3ff
	s_delay_alu instid0(SALU_CYCLE_1) | instskip(NEXT) | instid1(SALU_CYCLE_1)
	s_bitset1_b32 s0, 10
	s_mov_b32 m0, s0
	s_sendmsg sendmsg(MSG_INTERRUPT)
	s_mov_b32 m0, ttmp2
.LBB6_1875:                             ; =>This Inner Loop Header: Depth=1
	s_sethalt 5
	s_branch .LBB6_1875
.LBB6_1876:
	s_trap 2
	s_sendmsg_rtn_b32 s0, sendmsg(MSG_RTN_GET_DOORBELL)
	s_mov_b32 ttmp2, m0
	s_waitcnt lgkmcnt(0)
	s_and_b32 s0, s0, 0x3ff
	s_delay_alu instid0(SALU_CYCLE_1) | instskip(NEXT) | instid1(SALU_CYCLE_1)
	s_bitset1_b32 s0, 10
	s_mov_b32 m0, s0
	s_sendmsg sendmsg(MSG_INTERRUPT)
	s_mov_b32 m0, ttmp2
.LBB6_1877:                             ; =>This Inner Loop Header: Depth=1
	s_sethalt 5
	s_branch .LBB6_1877
.LBB6_1878:
	s_trap 2
	s_sendmsg_rtn_b32 s0, sendmsg(MSG_RTN_GET_DOORBELL)
	s_mov_b32 ttmp2, m0
	s_waitcnt lgkmcnt(0)
	s_and_b32 s0, s0, 0x3ff
	s_delay_alu instid0(SALU_CYCLE_1) | instskip(NEXT) | instid1(SALU_CYCLE_1)
	s_bitset1_b32 s0, 10
	s_mov_b32 m0, s0
	s_sendmsg sendmsg(MSG_INTERRUPT)
	s_mov_b32 m0, ttmp2
.LBB6_1879:                             ; =>This Inner Loop Header: Depth=1
	s_sethalt 5
	s_branch .LBB6_1879
.LBB6_1880:
	s_trap 2
	s_sendmsg_rtn_b32 s0, sendmsg(MSG_RTN_GET_DOORBELL)
	s_mov_b32 ttmp2, m0
	s_waitcnt lgkmcnt(0)
	s_and_b32 s0, s0, 0x3ff
	s_delay_alu instid0(SALU_CYCLE_1) | instskip(NEXT) | instid1(SALU_CYCLE_1)
	s_bitset1_b32 s0, 10
	s_mov_b32 m0, s0
	s_sendmsg sendmsg(MSG_INTERRUPT)
	s_mov_b32 m0, ttmp2
.LBB6_1881:                             ; =>This Inner Loop Header: Depth=1
	s_sethalt 5
	s_branch .LBB6_1881
.LBB6_1882:
	s_trap 2
	s_sendmsg_rtn_b32 s0, sendmsg(MSG_RTN_GET_DOORBELL)
	s_mov_b32 ttmp2, m0
	s_waitcnt lgkmcnt(0)
	s_and_b32 s0, s0, 0x3ff
	s_delay_alu instid0(SALU_CYCLE_1) | instskip(NEXT) | instid1(SALU_CYCLE_1)
	s_bitset1_b32 s0, 10
	s_mov_b32 m0, s0
	s_sendmsg sendmsg(MSG_INTERRUPT)
	s_mov_b32 m0, ttmp2
.LBB6_1883:                             ; =>This Inner Loop Header: Depth=1
	s_sethalt 5
	s_branch .LBB6_1883
.LBB6_1884:
	s_trap 2
	s_sendmsg_rtn_b32 s0, sendmsg(MSG_RTN_GET_DOORBELL)
	s_mov_b32 ttmp2, m0
	s_waitcnt lgkmcnt(0)
	s_and_b32 s0, s0, 0x3ff
	s_delay_alu instid0(SALU_CYCLE_1) | instskip(NEXT) | instid1(SALU_CYCLE_1)
	s_bitset1_b32 s0, 10
	s_mov_b32 m0, s0
	s_sendmsg sendmsg(MSG_INTERRUPT)
	s_mov_b32 m0, ttmp2
.LBB6_1885:                             ; =>This Inner Loop Header: Depth=1
	s_sethalt 5
	s_branch .LBB6_1885
.LBB6_1886:
	s_trap 2
	s_sendmsg_rtn_b32 s0, sendmsg(MSG_RTN_GET_DOORBELL)
	s_mov_b32 ttmp2, m0
	s_waitcnt lgkmcnt(0)
	s_and_b32 s0, s0, 0x3ff
	s_delay_alu instid0(SALU_CYCLE_1) | instskip(NEXT) | instid1(SALU_CYCLE_1)
	s_bitset1_b32 s0, 10
	s_mov_b32 m0, s0
	s_sendmsg sendmsg(MSG_INTERRUPT)
	s_mov_b32 m0, ttmp2
.LBB6_1887:                             ; =>This Inner Loop Header: Depth=1
	s_sethalt 5
	s_branch .LBB6_1887
.LBB6_1888:
	s_trap 2
	s_sendmsg_rtn_b32 s0, sendmsg(MSG_RTN_GET_DOORBELL)
	s_mov_b32 ttmp2, m0
	s_waitcnt lgkmcnt(0)
	s_and_b32 s0, s0, 0x3ff
	s_delay_alu instid0(SALU_CYCLE_1) | instskip(NEXT) | instid1(SALU_CYCLE_1)
	s_bitset1_b32 s0, 10
	s_mov_b32 m0, s0
	s_sendmsg sendmsg(MSG_INTERRUPT)
	s_mov_b32 m0, ttmp2
.LBB6_1889:                             ; =>This Inner Loop Header: Depth=1
	s_sethalt 5
	s_branch .LBB6_1889
.LBB6_1890:
	s_trap 2
	s_sendmsg_rtn_b32 s0, sendmsg(MSG_RTN_GET_DOORBELL)
	s_mov_b32 ttmp2, m0
	s_waitcnt lgkmcnt(0)
	s_and_b32 s0, s0, 0x3ff
	s_delay_alu instid0(SALU_CYCLE_1) | instskip(NEXT) | instid1(SALU_CYCLE_1)
	s_bitset1_b32 s0, 10
	s_mov_b32 m0, s0
	s_sendmsg sendmsg(MSG_INTERRUPT)
	s_mov_b32 m0, ttmp2
.LBB6_1891:                             ; =>This Inner Loop Header: Depth=1
	s_sethalt 5
	s_branch .LBB6_1891
.LBB6_1892:
	s_trap 2
	s_sendmsg_rtn_b32 s0, sendmsg(MSG_RTN_GET_DOORBELL)
	s_mov_b32 ttmp2, m0
	s_waitcnt lgkmcnt(0)
	s_and_b32 s0, s0, 0x3ff
	s_delay_alu instid0(SALU_CYCLE_1) | instskip(NEXT) | instid1(SALU_CYCLE_1)
	s_bitset1_b32 s0, 10
	s_mov_b32 m0, s0
	s_sendmsg sendmsg(MSG_INTERRUPT)
	s_mov_b32 m0, ttmp2
.LBB6_1893:                             ; =>This Inner Loop Header: Depth=1
	s_sethalt 5
	s_branch .LBB6_1893
.LBB6_1894:
	s_trap 2
	s_sendmsg_rtn_b32 s0, sendmsg(MSG_RTN_GET_DOORBELL)
	s_mov_b32 ttmp2, m0
	s_waitcnt lgkmcnt(0)
	s_and_b32 s0, s0, 0x3ff
	s_delay_alu instid0(SALU_CYCLE_1) | instskip(NEXT) | instid1(SALU_CYCLE_1)
	s_bitset1_b32 s0, 10
	s_mov_b32 m0, s0
	s_sendmsg sendmsg(MSG_INTERRUPT)
	s_mov_b32 m0, ttmp2
.LBB6_1895:                             ; =>This Inner Loop Header: Depth=1
	s_sethalt 5
	s_branch .LBB6_1895
.LBB6_1896:
	s_trap 2
	s_sendmsg_rtn_b32 s0, sendmsg(MSG_RTN_GET_DOORBELL)
	s_mov_b32 ttmp2, m0
	s_waitcnt lgkmcnt(0)
	s_and_b32 s0, s0, 0x3ff
	s_delay_alu instid0(SALU_CYCLE_1) | instskip(NEXT) | instid1(SALU_CYCLE_1)
	s_bitset1_b32 s0, 10
	s_mov_b32 m0, s0
	s_sendmsg sendmsg(MSG_INTERRUPT)
	s_mov_b32 m0, ttmp2
.LBB6_1897:                             ; =>This Inner Loop Header: Depth=1
	s_sethalt 5
	s_branch .LBB6_1897
.LBB6_1898:
	s_trap 2
	s_sendmsg_rtn_b32 s0, sendmsg(MSG_RTN_GET_DOORBELL)
	s_mov_b32 ttmp2, m0
	s_waitcnt lgkmcnt(0)
	s_and_b32 s0, s0, 0x3ff
	s_delay_alu instid0(SALU_CYCLE_1) | instskip(NEXT) | instid1(SALU_CYCLE_1)
	s_bitset1_b32 s0, 10
	s_mov_b32 m0, s0
	s_sendmsg sendmsg(MSG_INTERRUPT)
	s_mov_b32 m0, ttmp2
.LBB6_1899:                             ; =>This Inner Loop Header: Depth=1
	s_sethalt 5
	s_branch .LBB6_1899
.LBB6_1900:
	s_trap 2
	s_sendmsg_rtn_b32 s0, sendmsg(MSG_RTN_GET_DOORBELL)
	s_mov_b32 ttmp2, m0
	s_waitcnt lgkmcnt(0)
	s_and_b32 s0, s0, 0x3ff
	s_delay_alu instid0(SALU_CYCLE_1) | instskip(NEXT) | instid1(SALU_CYCLE_1)
	s_bitset1_b32 s0, 10
	s_mov_b32 m0, s0
	s_sendmsg sendmsg(MSG_INTERRUPT)
	s_mov_b32 m0, ttmp2
.LBB6_1901:                             ; =>This Inner Loop Header: Depth=1
	s_sethalt 5
	s_branch .LBB6_1901
.LBB6_1902:
	s_trap 2
	s_sendmsg_rtn_b32 s0, sendmsg(MSG_RTN_GET_DOORBELL)
	s_mov_b32 ttmp2, m0
	s_waitcnt lgkmcnt(0)
	s_and_b32 s0, s0, 0x3ff
	s_delay_alu instid0(SALU_CYCLE_1) | instskip(NEXT) | instid1(SALU_CYCLE_1)
	s_bitset1_b32 s0, 10
	s_mov_b32 m0, s0
	s_sendmsg sendmsg(MSG_INTERRUPT)
	s_mov_b32 m0, ttmp2
.LBB6_1903:                             ; =>This Inner Loop Header: Depth=1
	s_sethalt 5
	s_branch .LBB6_1903
.LBB6_1904:
	s_trap 2
	s_sendmsg_rtn_b32 s0, sendmsg(MSG_RTN_GET_DOORBELL)
	s_mov_b32 ttmp2, m0
	s_waitcnt lgkmcnt(0)
	s_and_b32 s0, s0, 0x3ff
	s_delay_alu instid0(SALU_CYCLE_1) | instskip(NEXT) | instid1(SALU_CYCLE_1)
	s_bitset1_b32 s0, 10
	s_mov_b32 m0, s0
	s_sendmsg sendmsg(MSG_INTERRUPT)
	s_mov_b32 m0, ttmp2
.LBB6_1905:                             ; =>This Inner Loop Header: Depth=1
	s_sethalt 5
	s_branch .LBB6_1905
.LBB6_1906:
	s_trap 2
	s_sendmsg_rtn_b32 s0, sendmsg(MSG_RTN_GET_DOORBELL)
	s_mov_b32 ttmp2, m0
	s_waitcnt lgkmcnt(0)
	s_and_b32 s0, s0, 0x3ff
	s_delay_alu instid0(SALU_CYCLE_1) | instskip(NEXT) | instid1(SALU_CYCLE_1)
	s_bitset1_b32 s0, 10
	s_mov_b32 m0, s0
	s_sendmsg sendmsg(MSG_INTERRUPT)
	s_mov_b32 m0, ttmp2
.LBB6_1907:                             ; =>This Inner Loop Header: Depth=1
	s_sethalt 5
	s_branch .LBB6_1907
.LBB6_1908:
	s_trap 2
	s_sendmsg_rtn_b32 s0, sendmsg(MSG_RTN_GET_DOORBELL)
	s_mov_b32 ttmp2, m0
	s_waitcnt lgkmcnt(0)
	s_and_b32 s0, s0, 0x3ff
	s_delay_alu instid0(SALU_CYCLE_1) | instskip(NEXT) | instid1(SALU_CYCLE_1)
	s_bitset1_b32 s0, 10
	s_mov_b32 m0, s0
	s_sendmsg sendmsg(MSG_INTERRUPT)
	s_mov_b32 m0, ttmp2
.LBB6_1909:                             ; =>This Inner Loop Header: Depth=1
	s_sethalt 5
	s_branch .LBB6_1909
.LBB6_1910:
	s_trap 2
	s_sendmsg_rtn_b32 s0, sendmsg(MSG_RTN_GET_DOORBELL)
	s_mov_b32 ttmp2, m0
	s_waitcnt lgkmcnt(0)
	s_and_b32 s0, s0, 0x3ff
	s_delay_alu instid0(SALU_CYCLE_1) | instskip(NEXT) | instid1(SALU_CYCLE_1)
	s_bitset1_b32 s0, 10
	s_mov_b32 m0, s0
	s_sendmsg sendmsg(MSG_INTERRUPT)
	s_mov_b32 m0, ttmp2
.LBB6_1911:                             ; =>This Inner Loop Header: Depth=1
	s_sethalt 5
	s_branch .LBB6_1911
.LBB6_1912:
	s_trap 2
	s_sendmsg_rtn_b32 s0, sendmsg(MSG_RTN_GET_DOORBELL)
	s_mov_b32 ttmp2, m0
	s_waitcnt lgkmcnt(0)
	s_and_b32 s0, s0, 0x3ff
	s_delay_alu instid0(SALU_CYCLE_1) | instskip(NEXT) | instid1(SALU_CYCLE_1)
	s_bitset1_b32 s0, 10
	s_mov_b32 m0, s0
	s_sendmsg sendmsg(MSG_INTERRUPT)
	s_mov_b32 m0, ttmp2
.LBB6_1913:                             ; =>This Inner Loop Header: Depth=1
	s_sethalt 5
	s_branch .LBB6_1913
.LBB6_1914:
	s_trap 2
	s_sendmsg_rtn_b32 s0, sendmsg(MSG_RTN_GET_DOORBELL)
	s_mov_b32 ttmp2, m0
	s_waitcnt lgkmcnt(0)
	s_and_b32 s0, s0, 0x3ff
	s_delay_alu instid0(SALU_CYCLE_1) | instskip(NEXT) | instid1(SALU_CYCLE_1)
	s_bitset1_b32 s0, 10
	s_mov_b32 m0, s0
	s_sendmsg sendmsg(MSG_INTERRUPT)
	s_mov_b32 m0, ttmp2
.LBB6_1915:                             ; =>This Inner Loop Header: Depth=1
	s_sethalt 5
	s_branch .LBB6_1915
.LBB6_1916:
	s_trap 2
	s_sendmsg_rtn_b32 s0, sendmsg(MSG_RTN_GET_DOORBELL)
	s_mov_b32 ttmp2, m0
	s_waitcnt lgkmcnt(0)
	s_and_b32 s0, s0, 0x3ff
	s_delay_alu instid0(SALU_CYCLE_1) | instskip(NEXT) | instid1(SALU_CYCLE_1)
	s_bitset1_b32 s0, 10
	s_mov_b32 m0, s0
	s_sendmsg sendmsg(MSG_INTERRUPT)
	s_mov_b32 m0, ttmp2
.LBB6_1917:                             ; =>This Inner Loop Header: Depth=1
	s_sethalt 5
	s_branch .LBB6_1917
.LBB6_1918:
	s_trap 2
	s_sendmsg_rtn_b32 s0, sendmsg(MSG_RTN_GET_DOORBELL)
	s_mov_b32 ttmp2, m0
	s_waitcnt lgkmcnt(0)
	s_and_b32 s0, s0, 0x3ff
	s_delay_alu instid0(SALU_CYCLE_1) | instskip(NEXT) | instid1(SALU_CYCLE_1)
	s_bitset1_b32 s0, 10
	s_mov_b32 m0, s0
	s_sendmsg sendmsg(MSG_INTERRUPT)
	s_mov_b32 m0, ttmp2
.LBB6_1919:                             ; =>This Inner Loop Header: Depth=1
	s_sethalt 5
	s_branch .LBB6_1919
.LBB6_1920:
	s_trap 2
	s_sendmsg_rtn_b32 s0, sendmsg(MSG_RTN_GET_DOORBELL)
	s_mov_b32 ttmp2, m0
	s_waitcnt lgkmcnt(0)
	s_and_b32 s0, s0, 0x3ff
	s_delay_alu instid0(SALU_CYCLE_1) | instskip(NEXT) | instid1(SALU_CYCLE_1)
	s_bitset1_b32 s0, 10
	s_mov_b32 m0, s0
	s_sendmsg sendmsg(MSG_INTERRUPT)
	s_mov_b32 m0, ttmp2
.LBB6_1921:                             ; =>This Inner Loop Header: Depth=1
	s_sethalt 5
	s_branch .LBB6_1921
.LBB6_1922:
	s_trap 2
	s_sendmsg_rtn_b32 s0, sendmsg(MSG_RTN_GET_DOORBELL)
	s_mov_b32 ttmp2, m0
	s_waitcnt lgkmcnt(0)
	s_and_b32 s0, s0, 0x3ff
	s_delay_alu instid0(SALU_CYCLE_1) | instskip(NEXT) | instid1(SALU_CYCLE_1)
	s_bitset1_b32 s0, 10
	s_mov_b32 m0, s0
	s_sendmsg sendmsg(MSG_INTERRUPT)
	s_mov_b32 m0, ttmp2
.LBB6_1923:                             ; =>This Inner Loop Header: Depth=1
	s_sethalt 5
	s_branch .LBB6_1923
.LBB6_1924:
	s_trap 2
	s_sendmsg_rtn_b32 s0, sendmsg(MSG_RTN_GET_DOORBELL)
	s_mov_b32 ttmp2, m0
	s_waitcnt lgkmcnt(0)
	s_and_b32 s0, s0, 0x3ff
	s_delay_alu instid0(SALU_CYCLE_1) | instskip(NEXT) | instid1(SALU_CYCLE_1)
	s_bitset1_b32 s0, 10
	s_mov_b32 m0, s0
	s_sendmsg sendmsg(MSG_INTERRUPT)
	s_mov_b32 m0, ttmp2
.LBB6_1925:                             ; =>This Inner Loop Header: Depth=1
	s_sethalt 5
	s_branch .LBB6_1925
.LBB6_1926:
	s_trap 2
	s_sendmsg_rtn_b32 s0, sendmsg(MSG_RTN_GET_DOORBELL)
	s_mov_b32 ttmp2, m0
	s_waitcnt lgkmcnt(0)
	s_and_b32 s0, s0, 0x3ff
	s_delay_alu instid0(SALU_CYCLE_1) | instskip(NEXT) | instid1(SALU_CYCLE_1)
	s_bitset1_b32 s0, 10
	s_mov_b32 m0, s0
	s_sendmsg sendmsg(MSG_INTERRUPT)
	s_mov_b32 m0, ttmp2
.LBB6_1927:                             ; =>This Inner Loop Header: Depth=1
	s_sethalt 5
	s_branch .LBB6_1927
.LBB6_1928:
	s_trap 2
	s_sendmsg_rtn_b32 s0, sendmsg(MSG_RTN_GET_DOORBELL)
	s_mov_b32 ttmp2, m0
	s_waitcnt lgkmcnt(0)
	s_and_b32 s0, s0, 0x3ff
	s_delay_alu instid0(SALU_CYCLE_1) | instskip(NEXT) | instid1(SALU_CYCLE_1)
	s_bitset1_b32 s0, 10
	s_mov_b32 m0, s0
	s_sendmsg sendmsg(MSG_INTERRUPT)
	s_mov_b32 m0, ttmp2
.LBB6_1929:                             ; =>This Inner Loop Header: Depth=1
	s_sethalt 5
	s_branch .LBB6_1929
.LBB6_1930:
	s_trap 2
	s_sendmsg_rtn_b32 s0, sendmsg(MSG_RTN_GET_DOORBELL)
	s_mov_b32 ttmp2, m0
	s_waitcnt lgkmcnt(0)
	s_and_b32 s0, s0, 0x3ff
	s_delay_alu instid0(SALU_CYCLE_1) | instskip(NEXT) | instid1(SALU_CYCLE_1)
	s_bitset1_b32 s0, 10
	s_mov_b32 m0, s0
	s_sendmsg sendmsg(MSG_INTERRUPT)
	s_mov_b32 m0, ttmp2
.LBB6_1931:                             ; =>This Inner Loop Header: Depth=1
	s_sethalt 5
	s_branch .LBB6_1931
.LBB6_1932:
	s_trap 2
	s_sendmsg_rtn_b32 s0, sendmsg(MSG_RTN_GET_DOORBELL)
	s_mov_b32 ttmp2, m0
	s_waitcnt lgkmcnt(0)
	s_and_b32 s0, s0, 0x3ff
	s_delay_alu instid0(SALU_CYCLE_1) | instskip(NEXT) | instid1(SALU_CYCLE_1)
	s_bitset1_b32 s0, 10
	s_mov_b32 m0, s0
	s_sendmsg sendmsg(MSG_INTERRUPT)
	s_mov_b32 m0, ttmp2
.LBB6_1933:                             ; =>This Inner Loop Header: Depth=1
	s_sethalt 5
	s_branch .LBB6_1933
.LBB6_1934:
	s_trap 2
	s_sendmsg_rtn_b32 s0, sendmsg(MSG_RTN_GET_DOORBELL)
	s_mov_b32 ttmp2, m0
	s_waitcnt lgkmcnt(0)
	s_and_b32 s0, s0, 0x3ff
	s_delay_alu instid0(SALU_CYCLE_1) | instskip(NEXT) | instid1(SALU_CYCLE_1)
	s_bitset1_b32 s0, 10
	s_mov_b32 m0, s0
	s_sendmsg sendmsg(MSG_INTERRUPT)
	s_mov_b32 m0, ttmp2
.LBB6_1935:                             ; =>This Inner Loop Header: Depth=1
	s_sethalt 5
	s_branch .LBB6_1935
.LBB6_1936:
	s_trap 2
	s_sendmsg_rtn_b32 s0, sendmsg(MSG_RTN_GET_DOORBELL)
	s_mov_b32 ttmp2, m0
	s_waitcnt lgkmcnt(0)
	s_and_b32 s0, s0, 0x3ff
	s_delay_alu instid0(SALU_CYCLE_1) | instskip(NEXT) | instid1(SALU_CYCLE_1)
	s_bitset1_b32 s0, 10
	s_mov_b32 m0, s0
	s_sendmsg sendmsg(MSG_INTERRUPT)
	s_mov_b32 m0, ttmp2
.LBB6_1937:                             ; =>This Inner Loop Header: Depth=1
	s_sethalt 5
	s_branch .LBB6_1937
.LBB6_1938:
	s_trap 2
	s_sendmsg_rtn_b32 s0, sendmsg(MSG_RTN_GET_DOORBELL)
	s_mov_b32 ttmp2, m0
	s_waitcnt lgkmcnt(0)
	s_and_b32 s0, s0, 0x3ff
	s_delay_alu instid0(SALU_CYCLE_1) | instskip(NEXT) | instid1(SALU_CYCLE_1)
	s_bitset1_b32 s0, 10
	s_mov_b32 m0, s0
	s_sendmsg sendmsg(MSG_INTERRUPT)
	s_mov_b32 m0, ttmp2
.LBB6_1939:                             ; =>This Inner Loop Header: Depth=1
	s_sethalt 5
	s_branch .LBB6_1939
.Lfunc_end6:
	.size	_ZN12_GLOBAL__N_17runRingIh14FuncSumPostDivIhE11ProtoSimpleILi2ELi2ELi0ELi4ELi0ELi0EELi0ELi0ELi4ELi0EEEviiP15ncclDevWorkColl, .Lfunc_end6-_ZN12_GLOBAL__N_17runRingIh14FuncSumPostDivIhE11ProtoSimpleILi2ELi2ELi0ELi4ELi0ELi0EELi0ELi0ELi4ELi0EEEviiP15ncclDevWorkColl
                                        ; -- End function
	.section	.AMDGPU.csdata,"",@progbits
; Function info:
; codeLenInByte = 92924
; NumSgprs: 56
; NumVgprs: 184
; ScratchSize: 352
; MemoryBound: 1
	.text
	.p2align	2                               ; -- Begin function _Z53ncclDevFunc_AllReduce_RING_SIMPLE_SumPostDiv_u8_0_0_4v
	.type	_Z53ncclDevFunc_AllReduce_RING_SIMPLE_SumPostDiv_u8_0_0_4v,@function
_Z53ncclDevFunc_AllReduce_RING_SIMPLE_SumPostDiv_u8_0_0_4v: ; @_Z53ncclDevFunc_AllReduce_RING_SIMPLE_SumPostDiv_u8_0_0_4v
; %bb.0:
	s_waitcnt vmcnt(0) expcnt(0) lgkmcnt(0)
	s_mov_b32 s0, s33
	s_mov_b32 s33, s32
	s_or_saveexec_b32 s1, -1
	scratch_store_b32 off, v42, s33 offset:16 ; 4-byte Folded Spill
	s_mov_b32 exec_lo, s1
	v_writelane_b32 v42, s0, 28
	s_add_i32 s32, s32, 32
	s_clause 0x3
	scratch_store_b32 off, v40, s33 offset:12
	; meta instruction
	scratch_store_b32 off, v41, s33 offset:8
	; meta instruction
	;; [unrolled: 2-line block ×3, first 2 shown]
	scratch_store_b32 off, v173, s33
	v_writelane_b32 v42, s34, 0
	v_writelane_b32 v42, s35, 1
	;; [unrolled: 1-line block ×28, first 2 shown]
	s_cbranch_execnz .LBB7_7
; %bb.1:
	ds_load_b32 v0, v0
	v_and_b32_e32 v40, 0x3ff, v31
	s_mov_b32 s0, exec_lo
	s_waitcnt lgkmcnt(0)
	s_delay_alu instid0(VALU_DEP_1)
	v_cmpx_lt_i32_e64 v40, v0
	s_cbranch_execz .LBB7_9
; %bb.2:
	s_load_b32 s1, s[8:9], 0x0
	v_mov_b32_e32 v1, 0
	s_waitcnt lgkmcnt(0)
	s_cmp_lt_u32 s12, s1
	s_cselect_b32 s1, 12, 18
	s_delay_alu instid0(SALU_CYCLE_1)
	s_add_u32 s2, s8, s1
	s_addc_u32 s3, s9, 0
	s_mov_b32 s1, 0
	global_load_u16 v1, v1, s[2:3]
	s_cbranch_execnz .LBB7_24
; %bb.3:
	ds_load_b32 v2, v0
	v_mov_b32_e32 v3, v40
                                        ; implicit-def: $vgpr4
	s_waitcnt vmcnt(0) lgkmcnt(0)
	v_mul_lo_u32 v2, v2, v1
	s_branch .LBB7_5
	.p2align	6
.LBB7_4:                                ;   in Loop: Header=BB7_5 Depth=1
	s_or_b32 exec_lo, exec_lo, s2
	v_add_nc_u32_e32 v3, v3, v1
	v_add_nc_u32_e32 v4, v4, v2
	s_delay_alu instid0(VALU_DEP_2) | instskip(SKIP_1) | instid1(SALU_CYCLE_1)
	v_cmp_ge_i32_e32 vcc_lo, v3, v0
	s_or_b32 s1, vcc_lo, s1
	s_and_not1_b32 exec_lo, exec_lo, s1
	s_cbranch_execz .LBB7_9
.LBB7_5:                                ; =>This Inner Loop Header: Depth=1
	ds_load_b32 v5, v4
	s_mov_b32 s2, exec_lo
	s_waitcnt lgkmcnt(0)
	v_and_b32_e32 v5, 0x1000000, v5
	s_delay_alu instid0(VALU_DEP_1)
	v_cmpx_ne_u32_e32 0, v5
	s_cbranch_execz .LBB7_4
; %bb.6:                                ;   in Loop: Header=BB7_5 Depth=1
	ds_load_b64 v[5:6], v4 offset:104
	s_waitcnt lgkmcnt(0)
	flat_load_b64 v[5:6], v[5:6]
	s_waitcnt vmcnt(0) lgkmcnt(0)
	ds_store_b64 v4, v[5:6] offset:104
	s_branch .LBB7_4
.LBB7_7:
	s_trap 2
	s_sendmsg_rtn_b32 s0, sendmsg(MSG_RTN_GET_DOORBELL)
	s_mov_b32 ttmp2, m0
	s_waitcnt lgkmcnt(0)
	s_and_b32 s0, s0, 0x3ff
	s_delay_alu instid0(SALU_CYCLE_1) | instskip(NEXT) | instid1(SALU_CYCLE_1)
	s_bitset1_b32 s0, 10
	s_mov_b32 m0, s0
	s_sendmsg sendmsg(MSG_INTERRUPT)
	s_mov_b32 m0, ttmp2
.LBB7_8:                                ; =>This Inner Loop Header: Depth=1
	s_sethalt 5
	s_branch .LBB7_8
.LBB7_9:
	s_or_b32 exec_lo, exec_lo, s0
	s_waitcnt lgkmcnt(0)
	s_waitcnt_vscnt null, 0x0
	s_barrier
	buffer_gl0_inv
	s_cbranch_execnz .LBB7_22
; %bb.10:
	ds_load_b32 v0, v0
	s_waitcnt lgkmcnt(0)
	v_cmp_gt_i32_e32 vcc_lo, 1, v0
	s_cbranch_vccnz .LBB7_21
; %bb.11:
	s_mov_b32 s58, 0
	s_mov_b64 s[56:57], src_shared_base
.LBB7_12:                               ; =>This Inner Loop Header: Depth=1
	s_cbranch_execnz .LBB7_26
; %bb.13:                               ;   in Loop: Header=BB7_12 Depth=1
	ds_load_b32 v0, v0
	s_cmp_eq_u32 s58, 0
	s_cbranch_scc1 .LBB7_17
; %bb.14:                               ;   in Loop: Header=BB7_12 Depth=1
	s_cbranch_execnz .LBB7_30
; %bb.15:                               ;   in Loop: Header=BB7_12 Depth=1
	s_waitcnt lgkmcnt(0)
	ds_load_b32 v1, v0
	s_waitcnt lgkmcnt(0)
	v_xor_b32_e32 v1, v1, v0
	s_delay_alu instid0(VALU_DEP_1) | instskip(NEXT) | instid1(VALU_DEP_1)
	v_and_b32_e32 v1, 0xff0000, v1
	v_cmp_eq_u32_e32 vcc_lo, 0, v1
	s_cbranch_vccnz .LBB7_17
; %bb.16:                               ;   in Loop: Header=BB7_12 Depth=1
	s_waitcnt_vscnt null, 0x0
	s_barrier
	buffer_gl0_inv
	ds_load_b32 v0, v0
.LBB7_17:                               ;   in Loop: Header=BB7_12 Depth=1
	s_waitcnt lgkmcnt(0)
	v_lshrrev_b32_e32 v0, 11, v0
	s_mov_b32 s59, exec_lo
	s_delay_alu instid0(VALU_DEP_1) | instskip(NEXT) | instid1(VALU_DEP_1)
	v_and_b32_e32 v1, 0x1fe0, v0
	v_cmpx_lt_u32_e64 v40, v1
	s_cbranch_execz .LBB7_19
; %bb.18:                               ;   in Loop: Header=BB7_12 Depth=1
	v_dual_mov_b32 v41, v31 :: v_dual_mov_b32 v0, v40
	v_mov_b32_e32 v3, s57
	s_getpc_b64 s[0:1]
	s_add_u32 s0, s0, _ZN12_GLOBAL__N_17runRingIh14FuncSumPostDivIhE11ProtoSimpleILi2ELi2ELi0ELi4ELi0ELi0EELi0ELi0ELi4ELi0EEEviiP15ncclDevWorkColl@rel32@lo+4
	s_addc_u32 s1, s1, _ZN12_GLOBAL__N_17runRingIh14FuncSumPostDivIhE11ProtoSimpleILi2ELi2ELi0ELi4ELi0ELi0EELi0ELi0ELi4ELi0EEEviiP15ncclDevWorkColl@rel32@hi+12
	s_mov_b64 s[54:55], s[8:9]
	s_mov_b32 s56, s12
	s_swappc_b64 s[30:31], s[0:1]
	v_mov_b32_e32 v31, v41
	s_mov_b32 s12, s56
	s_mov_b64 s[8:9], s[54:55]
.LBB7_19:                               ;   in Loop: Header=BB7_12 Depth=1
	s_or_b32 exec_lo, exec_lo, s59
	s_cbranch_execnz .LBB7_28
; %bb.20:                               ;   in Loop: Header=BB7_12 Depth=1
	ds_load_b32 v0, v0
	s_add_i32 s58, s58, 1
	s_waitcnt lgkmcnt(0)
	v_cmp_lt_i32_e32 vcc_lo, s58, v0
	s_cbranch_vccnz .LBB7_12
.LBB7_21:
	s_clause 0x3
	scratch_load_b32 v173, off, s33
	scratch_load_b32 v172, off, s33 offset:4
	scratch_load_b32 v41, off, s33 offset:8
	;; [unrolled: 1-line block ×3, first 2 shown]
	v_readlane_b32 s30, v42, 26
	v_readlane_b32 s31, v42, 27
	;; [unrolled: 1-line block ×29, first 2 shown]
	s_or_saveexec_b32 s1, -1
	scratch_load_b32 v42, off, s33 offset:16 ; 4-byte Folded Reload
	s_mov_b32 exec_lo, s1
	s_addk_i32 s32, 0xffe0
	s_mov_b32 s33, s0
	s_waitcnt vmcnt(0)
	s_setpc_b64 s[30:31]
.LBB7_22:
	s_trap 2
	s_sendmsg_rtn_b32 s0, sendmsg(MSG_RTN_GET_DOORBELL)
	s_mov_b32 ttmp2, m0
	s_waitcnt lgkmcnt(0)
	s_and_b32 s0, s0, 0x3ff
	s_delay_alu instid0(SALU_CYCLE_1) | instskip(NEXT) | instid1(SALU_CYCLE_1)
	s_bitset1_b32 s0, 10
	s_mov_b32 m0, s0
	s_sendmsg sendmsg(MSG_INTERRUPT)
	s_mov_b32 m0, ttmp2
.LBB7_23:                               ; =>This Inner Loop Header: Depth=1
	s_sethalt 5
	s_branch .LBB7_23
.LBB7_24:
	s_trap 2
	s_sendmsg_rtn_b32 s0, sendmsg(MSG_RTN_GET_DOORBELL)
	s_mov_b32 ttmp2, m0
	s_waitcnt lgkmcnt(0)
	s_and_b32 s0, s0, 0x3ff
	s_delay_alu instid0(SALU_CYCLE_1) | instskip(NEXT) | instid1(SALU_CYCLE_1)
	s_bitset1_b32 s0, 10
	s_mov_b32 m0, s0
	s_sendmsg sendmsg(MSG_INTERRUPT)
	s_mov_b32 m0, ttmp2
.LBB7_25:                               ; =>This Inner Loop Header: Depth=1
	s_sethalt 5
	s_branch .LBB7_25
.LBB7_26:
	s_trap 2
	s_sendmsg_rtn_b32 s0, sendmsg(MSG_RTN_GET_DOORBELL)
	s_mov_b32 ttmp2, m0
	s_waitcnt lgkmcnt(0)
	s_and_b32 s0, s0, 0x3ff
	s_delay_alu instid0(SALU_CYCLE_1) | instskip(NEXT) | instid1(SALU_CYCLE_1)
	s_bitset1_b32 s0, 10
	s_mov_b32 m0, s0
	s_sendmsg sendmsg(MSG_INTERRUPT)
	s_mov_b32 m0, ttmp2
.LBB7_27:                               ; =>This Inner Loop Header: Depth=1
	s_sethalt 5
	s_branch .LBB7_27
.LBB7_28:
	s_trap 2
	s_sendmsg_rtn_b32 s0, sendmsg(MSG_RTN_GET_DOORBELL)
	s_mov_b32 ttmp2, m0
	s_waitcnt lgkmcnt(0)
	s_and_b32 s0, s0, 0x3ff
	s_delay_alu instid0(SALU_CYCLE_1) | instskip(NEXT) | instid1(SALU_CYCLE_1)
	s_bitset1_b32 s0, 10
	s_mov_b32 m0, s0
	s_sendmsg sendmsg(MSG_INTERRUPT)
	s_mov_b32 m0, ttmp2
.LBB7_29:                               ; =>This Inner Loop Header: Depth=1
	s_sethalt 5
	s_branch .LBB7_29
.LBB7_30:
	s_trap 2
	s_sendmsg_rtn_b32 s0, sendmsg(MSG_RTN_GET_DOORBELL)
	s_mov_b32 ttmp2, m0
	s_waitcnt lgkmcnt(0)
	s_and_b32 s0, s0, 0x3ff
	s_delay_alu instid0(SALU_CYCLE_1) | instskip(NEXT) | instid1(SALU_CYCLE_1)
	s_bitset1_b32 s0, 10
	s_mov_b32 m0, s0
	s_sendmsg sendmsg(MSG_INTERRUPT)
	s_mov_b32 m0, ttmp2
.LBB7_31:                               ; =>This Inner Loop Header: Depth=1
	s_sethalt 5
	s_branch .LBB7_31
.Lfunc_end7:
	.size	_Z53ncclDevFunc_AllReduce_RING_SIMPLE_SumPostDiv_u8_0_0_4v, .Lfunc_end7-_Z53ncclDevFunc_AllReduce_RING_SIMPLE_SumPostDiv_u8_0_0_4v
                                        ; -- End function
	.section	.AMDGPU.csdata,"",@progbits
; Function info:
; codeLenInByte = 1408
; NumSgprs: 62
; NumVgprs: 184
; ScratchSize: 384
; MemoryBound: 0
	.text
	.p2alignl 7, 3214868480
	.fill 96, 4, 3214868480
	.type	__const.__assert_fail.fmt,@object ; @__const.__assert_fail.fmt
	.section	.rodata.str1.16,"aMS",@progbits,1
	.p2align	4, 0x0
__const.__assert_fail.fmt:
	.asciz	"%s:%u: %s: Device-side assertion `%s' failed.\n"
	.size	__const.__assert_fail.fmt, 47

	.type	.str.1,@object                  ; @.str.1
	.section	.rodata.str1.1,"aMS",@progbits,1
.str.1:
	.asciz	"2*(nrecv+nsend) <= nthreads"
	.size	.str.1, 28

	.type	.str.2,@object                  ; @.str.2
.str.2:
	.asciz	"/root/src/amdgpu-assembly/repos/ROCm__rccl/hipify/src/device/prims_simple.h"
	.size	.str.2, 76

	.type	__PRETTY_FUNCTION__._ZN10PrimitivesIh14FuncSumPostDivIhE12FanSymmetricILi1EELi0E11ProtoSimpleILi2ELi2ELi0ELi1ELi0ELi0EELi0ELb0ELi0ELi0ELi0EEC2EiiPKiS8_PKvPvmhhhP15ncclDevWorkCollP14ncclDevWorkP2pii,@object ; @__PRETTY_FUNCTION__._ZN10PrimitivesIh14FuncSumPostDivIhE12FanSymmetricILi1EELi0E11ProtoSimpleILi2ELi2ELi0ELi1ELi0ELi0EELi0ELb0ELi0ELi0ELi0EEC2EiiPKiS8_PKvPvmhhhP15ncclDevWorkCollP14ncclDevWorkP2pii
__PRETTY_FUNCTION__._ZN10PrimitivesIh14FuncSumPostDivIhE12FanSymmetricILi1EELi0E11ProtoSimpleILi2ELi2ELi0ELi1ELi0ELi0EELi0ELb0ELi0ELi0ELi0EEC2EiiPKiS8_PKvPvmhhhP15ncclDevWorkCollP14ncclDevWorkP2pii:
	.asciz	"Primitives<unsigned char, FuncSumPostDiv<unsigned char>, FanSymmetric<1>, 0, ProtoSimple<2, 2, 0, 1>, 0>::Primitives(int, int, const int *, const int *, const void *, void *, uint64_t, uint8_t, uint8_t, uint8_t, struct ncclDevWorkColl *, struct ncclDevWorkP2p *, int, int) [T = unsigned char, RedOp = FuncSumPostDiv<unsigned char>, Fan = FanSymmetric<1>, Direct = 0, Proto = ProtoSimple<2, 2, 0, 1>, P2p = 0, isNetOffload = false, Metadata = 0, Pipeline = 0, useAcc = 0]"
	.size	__PRETTY_FUNCTION__._ZN10PrimitivesIh14FuncSumPostDivIhE12FanSymmetricILi1EELi0E11ProtoSimpleILi2ELi2ELi0ELi1ELi0ELi0EELi0ELb0ELi0ELi0ELi0EEC2EiiPKiS8_PKvPvmhhhP15ncclDevWorkCollP14ncclDevWorkP2pii, 471

	.type	__PRETTY_FUNCTION__._ZN10PrimitivesIh14FuncSumPostDivIhE12FanSymmetricILi1EELi0E11ProtoSimpleILi2ELi2ELi0ELi2ELi0ELi0EELi0ELb0ELi0ELi0ELi0EEC2EiiPKiS8_PKvPvmhhhP15ncclDevWorkCollP14ncclDevWorkP2pii,@object ; @__PRETTY_FUNCTION__._ZN10PrimitivesIh14FuncSumPostDivIhE12FanSymmetricILi1EELi0E11ProtoSimpleILi2ELi2ELi0ELi2ELi0ELi0EELi0ELb0ELi0ELi0ELi0EEC2EiiPKiS8_PKvPvmhhhP15ncclDevWorkCollP14ncclDevWorkP2pii
__PRETTY_FUNCTION__._ZN10PrimitivesIh14FuncSumPostDivIhE12FanSymmetricILi1EELi0E11ProtoSimpleILi2ELi2ELi0ELi2ELi0ELi0EELi0ELb0ELi0ELi0ELi0EEC2EiiPKiS8_PKvPvmhhhP15ncclDevWorkCollP14ncclDevWorkP2pii:
	.asciz	"Primitives<unsigned char, FuncSumPostDiv<unsigned char>, FanSymmetric<1>, 0, ProtoSimple<2, 2, 0, 2>, 0>::Primitives(int, int, const int *, const int *, const void *, void *, uint64_t, uint8_t, uint8_t, uint8_t, struct ncclDevWorkColl *, struct ncclDevWorkP2p *, int, int) [T = unsigned char, RedOp = FuncSumPostDiv<unsigned char>, Fan = FanSymmetric<1>, Direct = 0, Proto = ProtoSimple<2, 2, 0, 2>, P2p = 0, isNetOffload = false, Metadata = 0, Pipeline = 0, useAcc = 0]"
	.size	__PRETTY_FUNCTION__._ZN10PrimitivesIh14FuncSumPostDivIhE12FanSymmetricILi1EELi0E11ProtoSimpleILi2ELi2ELi0ELi2ELi0ELi0EELi0ELb0ELi0ELi0ELi0EEC2EiiPKiS8_PKvPvmhhhP15ncclDevWorkCollP14ncclDevWorkP2pii, 471

	.type	__PRETTY_FUNCTION__._ZN10PrimitivesIh14FuncSumPostDivIhE12FanSymmetricILi1EELi0E11ProtoSimpleILi2ELi2ELi0ELi4ELi0ELi0EELi0ELb0ELi0ELi0ELi0EEC2EiiPKiS8_PKvPvmhhhP15ncclDevWorkCollP14ncclDevWorkP2pii,@object ; @__PRETTY_FUNCTION__._ZN10PrimitivesIh14FuncSumPostDivIhE12FanSymmetricILi1EELi0E11ProtoSimpleILi2ELi2ELi0ELi4ELi0ELi0EELi0ELb0ELi0ELi0ELi0EEC2EiiPKiS8_PKvPvmhhhP15ncclDevWorkCollP14ncclDevWorkP2pii
__PRETTY_FUNCTION__._ZN10PrimitivesIh14FuncSumPostDivIhE12FanSymmetricILi1EELi0E11ProtoSimpleILi2ELi2ELi0ELi4ELi0ELi0EELi0ELb0ELi0ELi0ELi0EEC2EiiPKiS8_PKvPvmhhhP15ncclDevWorkCollP14ncclDevWorkP2pii:
	.asciz	"Primitives<unsigned char, FuncSumPostDiv<unsigned char>, FanSymmetric<1>, 0, ProtoSimple<2, 2, 0, 4>, 0>::Primitives(int, int, const int *, const int *, const void *, void *, uint64_t, uint8_t, uint8_t, uint8_t, struct ncclDevWorkColl *, struct ncclDevWorkP2p *, int, int) [T = unsigned char, RedOp = FuncSumPostDiv<unsigned char>, Fan = FanSymmetric<1>, Direct = 0, Proto = ProtoSimple<2, 2, 0, 4>, P2p = 0, isNetOffload = false, Metadata = 0, Pipeline = 0, useAcc = 0]"
	.size	__PRETTY_FUNCTION__._ZN10PrimitivesIh14FuncSumPostDivIhE12FanSymmetricILi1EELi0E11ProtoSimpleILi2ELi2ELi0ELi4ELi0ELi0EELi0ELb0ELi0ELi0ELi0EEC2EiiPKiS8_PKvPvmhhhP15ncclDevWorkCollP14ncclDevWorkP2pii, 471

	.type	__hip_cuid_3da70ae3be2ae0,@object ; @__hip_cuid_3da70ae3be2ae0
	.section	.bss,"aw",@nobits
	.globl	__hip_cuid_3da70ae3be2ae0
__hip_cuid_3da70ae3be2ae0:
	.byte	0                               ; 0x0
	.size	__hip_cuid_3da70ae3be2ae0, 1

	.ident	"AMD clang version 19.0.0git (https://github.com/RadeonOpenCompute/llvm-project roc-6.4.0 25133 c7fe45cf4b819c5991fe208aaa96edf142730f1d)"
	.section	".note.GNU-stack","",@progbits
	.addrsig
	.addrsig_sym _Z53ncclDevFunc_AllReduce_RING_SIMPLE_SumPostDiv_u8_0_0_1v
	.addrsig_sym _Z53ncclDevFunc_AllReduce_RING_SIMPLE_SumPostDiv_u8_0_0_2v
	.addrsig_sym _Z53ncclDevFunc_AllReduce_RING_SIMPLE_SumPostDiv_u8_0_0_4v
	.addrsig_sym ncclShmem
	.addrsig_sym __hip_cuid_3da70ae3be2ae0
	.amdgpu_metadata
---
amdhsa.kernels:  []
amdhsa.target:   amdgcn-amd-amdhsa--gfx1100
amdhsa.version:
  - 1
  - 2
...

	.end_amdgpu_metadata
